;; amdgpu-corpus repo=ROCm/rocFFT kind=compiled arch=gfx1100 opt=O3
	.text
	.amdgcn_target "amdgcn-amd-amdhsa--gfx1100"
	.amdhsa_code_object_version 6
	.protected	bluestein_single_fwd_len816_dim1_dp_op_CI_CI ; -- Begin function bluestein_single_fwd_len816_dim1_dp_op_CI_CI
	.globl	bluestein_single_fwd_len816_dim1_dp_op_CI_CI
	.p2align	8
	.type	bluestein_single_fwd_len816_dim1_dp_op_CI_CI,@function
bluestein_single_fwd_len816_dim1_dp_op_CI_CI: ; @bluestein_single_fwd_len816_dim1_dp_op_CI_CI
; %bb.0:
	s_load_b128 s[4:7], s[0:1], 0x28
	v_mul_u32_u24_e32 v1, 0x506, v0
	s_mov_b32 s2, exec_lo
	v_mov_b32_e32 v248, 0
	s_delay_alu instid0(VALU_DEP_2) | instskip(NEXT) | instid1(VALU_DEP_1)
	v_lshrrev_b32_e32 v1, 16, v1
	v_add_nc_u32_e32 v247, s15, v1
	s_waitcnt lgkmcnt(0)
	s_delay_alu instid0(VALU_DEP_1)
	v_cmpx_gt_u64_e64 s[4:5], v[247:248]
	s_cbranch_execz .LBB0_23
; %bb.1:
	v_mul_lo_u16 v1, v1, 51
	s_clause 0x1
	s_load_b64 s[12:13], s[0:1], 0x0
	s_load_b64 s[14:15], s[0:1], 0x38
	s_delay_alu instid0(VALU_DEP_1) | instskip(NEXT) | instid1(VALU_DEP_1)
	v_sub_nc_u16 v0, v0, v1
	v_and_b32_e32 v248, 0xffff, v0
	v_cmp_gt_u16_e32 vcc_lo, 48, v0
	s_delay_alu instid0(VALU_DEP_2)
	v_or_b32_e32 v0, 0xc0, v248
	v_lshlrev_b32_e32 v255, 4, v248
	scratch_store_b32 off, v0, off offset:516 ; 4-byte Folded Spill
	v_or_b32_e32 v0, 0x180, v248
	scratch_store_b32 off, v0, off offset:512 ; 4-byte Folded Spill
	v_or_b32_e32 v0, 0x240, v248
	;; [unrolled: 2-line block ×3, first 2 shown]
	scratch_store_b32 off, v0, off offset:504 ; 4-byte Folded Spill
	s_and_saveexec_b32 s3, vcc_lo
	s_cbranch_execz .LBB0_3
; %bb.2:
	s_load_b64 s[4:5], s[0:1], 0x18
	v_or_b32_e32 v46, 0xc0, v248
	v_or_b32_e32 v47, 0x180, v248
	;; [unrolled: 1-line block ×4, first 2 shown]
	s_waitcnt lgkmcnt(0)
	v_add_co_u32 v12, s2, s12, v255
	s_delay_alu instid0(VALU_DEP_1) | instskip(NEXT) | instid1(VALU_DEP_3)
	v_add_co_ci_u32_e64 v13, null, s13, 0, s2
	v_lshlrev_b32_e32 v106, 4, v101
	s_delay_alu instid0(VALU_DEP_3) | instskip(NEXT) | instid1(VALU_DEP_1)
	v_add_co_u32 v86, s2, 0x1000, v12
	v_add_co_ci_u32_e64 v87, s2, 0, v13, s2
	s_load_b128 s[8:11], s[4:5], 0x0
	s_clause 0x7
	global_load_b128 v[0:3], v255, s[12:13]
	global_load_b128 v[4:7], v255, s[12:13] offset:768
	global_load_b128 v[8:11], v255, s[12:13] offset:1536
	global_load_b128 v[14:17], v255, s[12:13] offset:2304
	global_load_b128 v[18:21], v255, s[12:13] offset:3072
	global_load_b128 v[22:25], v255, s[12:13] offset:3840
	global_load_b128 v[26:29], v[86:87], off offset:512
	global_load_b128 v[30:33], v[86:87], off offset:1280
	s_waitcnt lgkmcnt(0)
	v_mad_u64_u32 v[34:35], null, s10, v247, 0
	v_mad_u64_u32 v[36:37], null, s8, v248, 0
	;; [unrolled: 1-line block ×5, first 2 shown]
	s_delay_alu instid0(VALU_DEP_4) | instskip(NEXT) | instid1(VALU_DEP_4)
	v_mad_u64_u32 v[42:43], null, s11, v247, v[35:36]
	v_mad_u64_u32 v[43:44], null, s9, v248, v[37:38]
	s_delay_alu instid0(VALU_DEP_4) | instskip(SKIP_2) | instid1(VALU_DEP_3)
	v_mad_u64_u32 v[44:45], null, s9, v46, v[39:40]
	s_mul_i32 s2, s9, 0x600
	s_mul_hi_u32 s10, s8, 0x600
	v_mad_u64_u32 v[45:46], null, s9, v47, v[41:42]
	v_mov_b32_e32 v35, v42
	v_mov_b32_e32 v41, v91
	v_mov_b32_e32 v37, v43
	v_mov_b32_e32 v39, v44
	s_add_i32 s10, s10, s2
	s_mul_i32 s16, s9, 0x300
	v_mad_u64_u32 v[74:75], null, s9, v100, v[41:42]
	v_lshlrev_b32_e32 v100, 4, v100
	v_lshlrev_b64 v[34:35], 4, v[34:35]
	v_lshlrev_b64 v[36:37], 4, v[36:37]
	v_mov_b32_e32 v41, v45
	v_lshlrev_b64 v[38:39], 4, v[38:39]
	s_mul_hi_u32 s17, s8, 0x300
	s_mul_i32 s4, s8, 0x300
	v_add_co_u32 v98, s2, s6, v34
	s_delay_alu instid0(VALU_DEP_1) | instskip(SKIP_1) | instid1(VALU_DEP_3)
	v_add_co_ci_u32_e64 v99, s2, s7, v35, s2
	v_lshlrev_b64 v[34:35], 4, v[40:41]
	v_add_co_u32 v40, s2, v98, v36
	s_delay_alu instid0(VALU_DEP_1) | instskip(SKIP_1) | instid1(VALU_DEP_1)
	v_add_co_ci_u32_e64 v41, s2, v99, v37, s2
	v_add_co_u32 v54, s2, v98, v38
	v_add_co_ci_u32_e64 v55, s2, v99, v39, s2
	s_add_i32 s17, s17, s16
	v_add_co_u32 v42, s2, v40, s4
	s_delay_alu instid0(VALU_DEP_1) | instskip(SKIP_1) | instid1(VALU_DEP_1)
	v_add_co_ci_u32_e64 v43, s2, s17, v41, s2
	v_add_co_u32 v34, s2, v98, v34
	v_add_co_ci_u32_e64 v35, s2, v99, v35, s2
	s_delay_alu instid0(VALU_DEP_4) | instskip(SKIP_3) | instid1(VALU_DEP_4)
	v_add_co_u32 v46, s2, v42, s4
	v_mad_u64_u32 v[92:93], null, s8, v101, 0
	v_lshlrev_b32_e32 v71, 4, v47
	v_add_co_ci_u32_e64 v47, s2, s17, v43, s2
	v_add_co_u32 v50, s2, v46, s4
	s_mul_i32 s5, s8, 0x600
	s_delay_alu instid0(VALU_DEP_4) | instskip(NEXT) | instid1(VALU_DEP_3)
	v_mov_b32_e32 v70, v93
	v_add_co_ci_u32_e64 v51, s2, s17, v47, s2
	s_delay_alu instid0(VALU_DEP_3) | instskip(NEXT) | instid1(VALU_DEP_3)
	v_add_co_u32 v58, s2, v50, s5
	v_mad_u64_u32 v[96:97], null, s9, v101, v[70:71]
	s_delay_alu instid0(VALU_DEP_3) | instskip(NEXT) | instid1(VALU_DEP_3)
	v_add_co_ci_u32_e64 v59, s2, s10, v51, s2
	v_add_co_u32 v62, s2, v58, s4
	v_mov_b32_e32 v91, v74
	s_delay_alu instid0(VALU_DEP_3) | instskip(NEXT) | instid1(VALU_DEP_3)
	v_add_co_ci_u32_e64 v63, s2, s17, v59, s2
	v_add_co_u32 v66, s2, v62, s4
	v_mov_b32_e32 v93, v96
	s_delay_alu instid0(VALU_DEP_3) | instskip(NEXT) | instid1(VALU_DEP_3)
	v_add_co_ci_u32_e64 v67, s2, s17, v63, s2
	v_add_co_u32 v75, s2, v66, s5
	v_lshlrev_b64 v[90:91], 4, v[90:91]
	s_delay_alu instid0(VALU_DEP_3) | instskip(NEXT) | instid1(VALU_DEP_3)
	v_add_co_ci_u32_e64 v76, s2, s10, v67, s2
	v_add_co_u32 v94, s2, v75, s4
	v_lshlrev_b64 v[92:93], 4, v[92:93]
	s_delay_alu instid0(VALU_DEP_3) | instskip(NEXT) | instid1(VALU_DEP_3)
	v_add_co_ci_u32_e64 v95, s2, s17, v76, s2
	v_add_co_u32 v110, s2, v94, s4
	global_load_b128 v[34:37], v[34:35], off
	v_add_co_ci_u32_e64 v111, s2, s17, v95, s2
	s_clause 0x5
	global_load_b128 v[38:41], v[40:41], off
	global_load_b128 v[42:45], v[42:43], off
	;; [unrolled: 1-line block ×8, first 2 shown]
	global_load_b128 v[70:73], v71, s[12:13]
	global_load_b128 v[74:77], v[75:76], off
	global_load_b128 v[78:81], v[94:95], off
	s_clause 0x1
	global_load_b128 v[82:85], v[86:87], off offset:2816
	global_load_b128 v[86:89], v[86:87], off offset:3584
	v_add_co_u32 v94, s2, v98, v90
	s_delay_alu instid0(VALU_DEP_1) | instskip(SKIP_1) | instid1(VALU_DEP_1)
	v_add_co_ci_u32_e64 v95, s2, v99, v91, s2
	v_add_co_u32 v102, s2, v98, v92
	v_add_co_ci_u32_e64 v103, s2, v99, v93, s2
	v_add_co_u32 v12, s2, 0x2000, v12
	s_delay_alu instid0(VALU_DEP_1) | instskip(SKIP_1) | instid1(VALU_DEP_1)
	v_add_co_ci_u32_e64 v13, s2, 0, v13, s2
	v_add_co_u32 v114, s2, v110, s5
	v_add_co_ci_u32_e64 v115, s2, s10, v111, s2
	global_load_b128 v[90:93], v[110:111], off
	global_load_b128 v[94:97], v[94:95], off
	global_load_b128 v[98:101], v100, s[12:13]
	global_load_b128 v[102:105], v[102:103], off
	global_load_b128 v[106:109], v106, s[12:13]
	v_add_co_u32 v122, s2, v114, s4
	s_delay_alu instid0(VALU_DEP_1)
	v_add_co_ci_u32_e64 v123, s2, s17, v115, s2
	global_load_b128 v[110:113], v[12:13], off offset:256
	v_add_co_u32 v134, s2, v122, s4
	global_load_b128 v[114:117], v[114:115], off
	v_add_co_ci_u32_e64 v135, s2, s17, v123, s2
	global_load_b128 v[118:121], v[12:13], off offset:1792
	global_load_b128 v[122:125], v[122:123], off
	s_clause 0x1
	global_load_b128 v[126:129], v[12:13], off offset:2560
	global_load_b128 v[130:133], v[12:13], off offset:3328
	global_load_b128 v[134:137], v[134:135], off
	s_waitcnt vmcnt(24)
	v_mul_f64 v[12:13], v[40:41], v[2:3]
	v_mul_f64 v[2:3], v[38:39], v[2:3]
	s_waitcnt vmcnt(20)
	v_mul_f64 v[138:139], v[56:57], v[20:21]
	v_mul_f64 v[20:21], v[54:55], v[20:21]
	;; [unrolled: 1-line block ×4, first 2 shown]
	s_waitcnt vmcnt(16)
	v_mul_f64 v[140:141], v[36:37], v[72:73]
	v_mul_f64 v[72:73], v[34:35], v[72:73]
	;; [unrolled: 1-line block ×12, first 2 shown]
	s_waitcnt vmcnt(13)
	v_mul_f64 v[166:167], v[76:77], v[84:85]
	v_mul_f64 v[84:85], v[74:75], v[84:85]
	s_waitcnt vmcnt(12)
	v_mul_f64 v[168:169], v[80:81], v[88:89]
	v_mul_f64 v[88:89], v[78:79], v[88:89]
	;; [unrolled: 3-line block ×8, first 2 shown]
	v_fma_f64 v[10:11], v[38:39], v[0:1], v[12:13]
	v_fma_f64 v[12:13], v[40:41], v[0:1], -v[2:3]
	v_fma_f64 v[0:1], v[54:55], v[18:19], v[138:139]
	v_fma_f64 v[2:3], v[56:57], v[18:19], -v[20:21]
	v_fma_f64 v[38:39], v[44:45], v[4:5], -v[148:149]
	v_fma_f64 v[16:17], v[34:35], v[70:71], v[140:141]
	v_fma_f64 v[18:19], v[36:37], v[70:71], -v[72:73]
	v_fma_f64 v[36:37], v[42:43], v[4:5], v[146:147]
	v_fma_f64 v[40:41], v[46:47], v[8:9], v[150:151]
	v_fma_f64 v[42:43], v[48:49], v[8:9], -v[152:153]
	v_fma_f64 v[44:45], v[50:51], v[14:15], v[154:155]
	v_fma_f64 v[46:47], v[52:53], v[14:15], -v[156:157]
	;; [unrolled: 2-line block ×13, first 2 shown]
	ds_store_b128 v255, v[10:13]
	ds_store_b128 v255, v[36:39] offset:768
	ds_store_b128 v255, v[40:43] offset:1536
	;; [unrolled: 1-line block ×16, first 2 shown]
.LBB0_3:
	s_or_b32 exec_lo, exec_lo, s3
	s_clause 0x1
	s_load_b64 s[4:5], s[0:1], 0x20
	s_load_b64 s[2:3], s[0:1], 0x8
	s_waitcnt lgkmcnt(0)
	s_waitcnt_vscnt null, 0x0
	s_barrier
	buffer_gl0_inv
                                        ; implicit-def: $vgpr0_vgpr1
                                        ; implicit-def: $vgpr64_vgpr65
                                        ; implicit-def: $vgpr60_vgpr61
                                        ; implicit-def: $vgpr56_vgpr57
                                        ; implicit-def: $vgpr52_vgpr53
                                        ; implicit-def: $vgpr48_vgpr49
                                        ; implicit-def: $vgpr44_vgpr45
                                        ; implicit-def: $vgpr40_vgpr41
                                        ; implicit-def: $vgpr36_vgpr37
                                        ; implicit-def: $vgpr32_vgpr33
                                        ; implicit-def: $vgpr28_vgpr29
                                        ; implicit-def: $vgpr24_vgpr25
                                        ; implicit-def: $vgpr20_vgpr21
                                        ; implicit-def: $vgpr16_vgpr17
                                        ; implicit-def: $vgpr12_vgpr13
                                        ; implicit-def: $vgpr8_vgpr9
                                        ; implicit-def: $vgpr4_vgpr5
	s_and_saveexec_b32 s0, vcc_lo
	s_cbranch_execz .LBB0_5
; %bb.4:
	ds_load_b128 v[0:3], v255
	ds_load_b128 v[64:67], v255 offset:768
	ds_load_b128 v[60:63], v255 offset:1536
	;; [unrolled: 1-line block ×16, first 2 shown]
.LBB0_5:
	s_or_b32 exec_lo, exec_lo, s0
	s_waitcnt lgkmcnt(0)
	v_add_f64 v[158:159], v[66:67], -v[6:7]
	v_add_f64 v[162:163], v[64:65], -v[4:5]
	s_mov_b32 s0, 0x5d8e7cdc
	s_mov_b32 s1, 0xbfd71e95
	v_add_f64 v[152:153], v[64:65], v[4:5]
	v_add_f64 v[164:165], v[66:67], v[6:7]
	v_add_f64 v[98:99], v[62:63], -v[10:11]
	v_add_f64 v[68:69], v[60:61], -v[8:9]
	s_mov_b32 s6, 0x370991
	s_mov_b32 s10, 0x2a9d6da3
	s_mov_b32 s7, 0x3fedd6d0
	s_mov_b32 s11, 0xbfe58eea
	v_add_f64 v[70:71], v[60:61], v[8:9]
	v_add_f64 v[102:103], v[62:63], v[10:11]
	v_add_f64 v[104:105], v[58:59], -v[14:15]
	v_add_f64 v[72:73], v[56:57], -v[12:13]
	s_mov_b32 s18, 0x75d4884
	s_mov_b32 s8, 0x7c9e640b
	s_mov_b32 s19, 0x3fe7a5f6
	s_mov_b32 s9, 0xbfeca52d
	v_add_f64 v[74:75], v[56:57], v[12:13]
	v_add_f64 v[106:107], v[58:59], v[14:15]
	v_add_f64 v[76:77], v[52:53], -v[16:17]
	v_add_f64 v[108:109], v[54:55], -v[18:19]
	s_mov_b32 s16, 0x2b2883cd
	s_mov_b32 s26, 0xeb564b22
	s_mov_b32 s17, 0x3fdc86fa
	s_mov_b32 s27, 0xbfefdd0d
	v_add_f64 v[110:111], v[54:55], v[18:19]
	v_add_f64 v[84:85], v[48:49], -v[20:21]
	v_add_f64 v[112:113], v[50:51], -v[22:23]
	s_mov_b32 s22, 0x3259b75e
	s_mov_b32 s20, 0x923c349f
	;; [unrolled: 1-line block ×4, first 2 shown]
	v_add_f64 v[114:115], v[50:51], v[22:23]
	v_add_f64 v[116:117], v[46:47], -v[26:27]
	s_mov_b32 s24, 0xc61f0d01
	v_mul_f64 v[160:161], v[158:159], s[0:1]
	v_mul_f64 v[166:167], v[162:163], s[0:1]
	s_mov_b32 s34, 0x6c9a05f6
	s_mov_b32 s25, 0xbfd183b1
	;; [unrolled: 1-line block ×3, first 2 shown]
	v_add_f64 v[118:119], v[46:47], v[26:27]
	v_mul_f64 v[128:129], v[98:99], s[10:11]
	v_mul_f64 v[130:131], v[68:69], s[10:11]
	v_add_f64 v[120:121], v[42:43], -v[30:31]
	s_mov_b32 s30, 0x6ed5f1bb
	s_mov_b32 s28, 0x4363dd80
	;; [unrolled: 1-line block ×4, first 2 shown]
	v_add_f64 v[122:123], v[42:43], v[30:31]
	v_mul_f64 v[132:133], v[104:105], s[8:9]
	v_mul_f64 v[134:135], v[72:73], s[8:9]
	v_add_f64 v[124:125], v[38:39], -v[34:35]
	s_mov_b32 s36, 0x910ea3b9
	s_mov_b32 s40, 0xacd6c6b4
	;; [unrolled: 1-line block ×5, first 2 shown]
	v_mul_f64 v[138:139], v[76:77], s[26:27]
	v_mul_f64 v[136:137], v[108:109], s[26:27]
	s_mov_b32 s39, 0xbfef7484
	s_barrier
	buffer_gl0_inv
	v_mul_f64 v[142:143], v[84:85], s[20:21]
	v_mul_f64 v[140:141], v[112:113], s[20:21]
	v_mul_f64 v[144:145], v[116:117], s[34:35]
	v_fma_f64 v[78:79], v[152:153], s[6:7], v[160:161]
	v_fma_f64 v[80:81], v[164:165], s[6:7], -v[166:167]
	v_fma_f64 v[82:83], v[70:71], s[18:19], v[128:129]
	v_fma_f64 v[86:87], v[102:103], s[18:19], -v[130:131]
	v_mul_f64 v[148:149], v[120:121], s[28:29]
	v_fma_f64 v[90:91], v[74:75], s[16:17], v[132:133]
	v_fma_f64 v[92:93], v[106:107], s[16:17], -v[134:135]
	v_mul_f64 v[154:155], v[124:125], s[40:41]
	v_fma_f64 v[96:97], v[110:111], s[22:23], -v[138:139]
	v_fma_f64 v[126:127], v[114:115], s[24:25], -v[142:143]
	v_add_f64 v[88:89], v[0:1], v[78:79]
	v_add_f64 v[80:81], v[2:3], v[80:81]
	v_add_f64 v[78:79], v[52:53], v[16:17]
	s_delay_alu instid0(VALU_DEP_3) | instskip(NEXT) | instid1(VALU_DEP_3)
	v_add_f64 v[82:83], v[82:83], v[88:89]
	v_add_f64 v[80:81], v[86:87], v[80:81]
	v_add_f64 v[86:87], v[48:49], v[20:21]
	v_add_f64 v[88:89], v[44:45], -v[24:25]
	v_fma_f64 v[94:95], v[78:79], s[22:23], v[136:137]
	v_add_f64 v[82:83], v[90:91], v[82:83]
	v_add_f64 v[80:81], v[92:93], v[80:81]
	;; [unrolled: 1-line block ×3, first 2 shown]
	v_add_f64 v[92:93], v[40:41], -v[28:29]
	v_mul_f64 v[146:147], v[88:89], s[34:35]
	v_fma_f64 v[100:101], v[86:87], s[24:25], v[140:141]
	v_add_f64 v[82:83], v[94:95], v[82:83]
	v_add_f64 v[80:81], v[96:97], v[80:81]
	;; [unrolled: 1-line block ×3, first 2 shown]
	v_add_f64 v[96:97], v[36:37], -v[32:33]
	v_mul_f64 v[150:151], v[92:93], s[28:29]
	v_fma_f64 v[168:169], v[90:91], s[30:31], v[144:145]
	v_fma_f64 v[170:171], v[118:119], s[30:31], -v[146:147]
	v_add_f64 v[82:83], v[100:101], v[82:83]
	v_add_f64 v[80:81], v[126:127], v[80:81]
	;; [unrolled: 1-line block ×4, first 2 shown]
	v_mul_f64 v[156:157], v[96:97], s[40:41]
	v_fma_f64 v[172:173], v[94:95], s[36:37], v[148:149]
	v_fma_f64 v[174:175], v[122:123], s[36:37], -v[150:151]
	v_add_f64 v[82:83], v[168:169], v[82:83]
	v_add_f64 v[80:81], v[170:171], v[80:81]
	v_fma_f64 v[168:169], v[100:101], s[38:39], v[154:155]
	v_fma_f64 v[170:171], v[126:127], s[38:39], -v[156:157]
	s_delay_alu instid0(VALU_DEP_4) | instskip(NEXT) | instid1(VALU_DEP_4)
	v_add_f64 v[82:83], v[172:173], v[82:83]
	v_add_f64 v[172:173], v[174:175], v[80:81]
	s_delay_alu instid0(VALU_DEP_2) | instskip(NEXT) | instid1(VALU_DEP_2)
	v_add_f64 v[80:81], v[168:169], v[82:83]
	v_add_f64 v[82:83], v[170:171], v[172:173]
	s_and_saveexec_b32 s33, vcc_lo
	s_cbranch_execz .LBB0_7
; %bb.6:
	v_add_f64 v[64:65], v[0:1], v[64:65]
	v_add_f64 v[66:67], v[2:3], v[66:67]
	s_mov_b32 s45, 0x3fe9895b
	s_mov_b32 s44, s34
	;; [unrolled: 1-line block ×16, first 2 shown]
	v_mul_f64 v[178:179], v[126:127], s[22:23]
	v_mul_f64 v[180:181], v[124:125], s[48:49]
	;; [unrolled: 1-line block ×20, first 2 shown]
	v_add_f64 v[60:61], v[64:65], v[60:61]
	v_add_f64 v[62:63], v[66:67], v[62:63]
	v_mul_f64 v[66:67], v[152:153], s[6:7]
	v_mul_f64 v[218:219], v[124:125], s[54:55]
	;; [unrolled: 1-line block ×14, first 2 shown]
	v_add_f64 v[56:57], v[60:61], v[56:57]
	v_add_f64 v[58:59], v[62:63], v[58:59]
	v_add_f64 v[66:67], v[66:67], -v[160:161]
	s_delay_alu instid0(VALU_DEP_3) | instskip(NEXT) | instid1(VALU_DEP_3)
	v_add_f64 v[52:53], v[56:57], v[52:53]
	v_add_f64 v[54:55], v[58:59], v[54:55]
	s_delay_alu instid0(VALU_DEP_2) | instskip(NEXT) | instid1(VALU_DEP_2)
	v_add_f64 v[48:49], v[52:53], v[48:49]
	v_add_f64 v[50:51], v[54:55], v[50:51]
	s_delay_alu instid0(VALU_DEP_2) | instskip(NEXT) | instid1(VALU_DEP_2)
	v_add_f64 v[44:45], v[48:49], v[44:45]
	v_add_f64 v[46:47], v[50:51], v[46:47]
	v_mul_f64 v[48:49], v[158:159], s[8:9]
	v_mul_f64 v[50:51], v[158:159], s[10:11]
	s_delay_alu instid0(VALU_DEP_4) | instskip(NEXT) | instid1(VALU_DEP_4)
	v_add_f64 v[40:41], v[44:45], v[40:41]
	v_add_f64 v[42:43], v[46:47], v[42:43]
	v_mul_f64 v[44:45], v[158:159], s[20:21]
	v_mul_f64 v[46:47], v[158:159], s[26:27]
	v_fma_f64 v[62:63], v[152:153], s[16:17], v[48:49]
	v_fma_f64 v[48:49], v[152:153], s[16:17], -v[48:49]
	v_fma_f64 v[64:65], v[152:153], s[18:19], v[50:51]
	v_fma_f64 v[50:51], v[152:153], s[18:19], -v[50:51]
	v_add_f64 v[36:37], v[40:41], v[36:37]
	v_add_f64 v[38:39], v[42:43], v[38:39]
	v_mul_f64 v[40:41], v[158:159], s[28:29]
	v_mul_f64 v[42:43], v[158:159], s[34:35]
	v_fma_f64 v[58:59], v[152:153], s[24:25], v[44:45]
	v_fma_f64 v[44:45], v[152:153], s[24:25], -v[44:45]
	v_fma_f64 v[60:61], v[152:153], s[22:23], v[46:47]
	v_fma_f64 v[46:47], v[152:153], s[22:23], -v[46:47]
	v_add_f64 v[62:63], v[0:1], v[62:63]
	v_add_f64 v[48:49], v[0:1], v[48:49]
	;; [unrolled: 1-line block ×4, first 2 shown]
	v_mul_f64 v[38:39], v[158:159], s[40:41]
	v_fma_f64 v[54:55], v[152:153], s[36:37], v[40:41]
	v_fma_f64 v[40:41], v[152:153], s[36:37], -v[40:41]
	v_fma_f64 v[56:57], v[152:153], s[30:31], v[42:43]
	v_fma_f64 v[42:43], v[152:153], s[30:31], -v[42:43]
	v_mul_f64 v[36:37], v[164:165], s[6:7]
	v_add_f64 v[58:59], v[0:1], v[58:59]
	v_add_f64 v[44:45], v[0:1], v[44:45]
	;; [unrolled: 1-line block ×6, first 2 shown]
	v_mul_f64 v[32:33], v[164:165], s[18:19]
	v_fma_f64 v[52:53], v[152:153], s[38:39], v[38:39]
	v_fma_f64 v[38:39], v[152:153], s[38:39], -v[38:39]
	v_add_f64 v[54:55], v[0:1], v[54:55]
	v_add_f64 v[40:41], v[0:1], v[40:41]
	;; [unrolled: 1-line block ×6, first 2 shown]
	v_mul_f64 v[28:29], v[164:165], s[16:17]
	v_fma_f64 v[34:35], v[162:163], s[54:55], v[32:33]
	v_fma_f64 v[32:33], v[162:163], s[10:11], v[32:33]
	v_add_f64 v[52:53], v[0:1], v[52:53]
	v_add_f64 v[38:39], v[0:1], v[38:39]
	;; [unrolled: 1-line block ×4, first 2 shown]
	v_mul_f64 v[24:25], v[164:165], s[22:23]
	v_fma_f64 v[30:31], v[162:163], s[50:51], v[28:29]
	v_fma_f64 v[28:29], v[162:163], s[8:9], v[28:29]
	v_add_f64 v[16:17], v[20:21], v[16:17]
	v_add_f64 v[18:19], v[22:23], v[18:19]
	v_mul_f64 v[20:21], v[164:165], s[24:25]
	v_fma_f64 v[26:27], v[162:163], s[48:49], v[24:25]
	v_fma_f64 v[24:25], v[162:163], s[26:27], v[24:25]
	v_add_f64 v[172:173], v[2:3], v[30:31]
	v_add_f64 v[30:31], v[0:1], v[50:51]
	;; [unrolled: 1-line block ×6, first 2 shown]
	v_mul_f64 v[16:17], v[164:165], s[30:31]
	v_fma_f64 v[22:23], v[162:163], s[56:57], v[20:21]
	v_fma_f64 v[20:21], v[162:163], s[20:21], v[20:21]
	v_add_f64 v[168:169], v[2:3], v[26:27]
	v_add_f64 v[26:27], v[0:1], v[66:67]
	;; [unrolled: 1-line block ×6, first 2 shown]
	v_mul_f64 v[12:13], v[164:165], s[36:37]
	v_fma_f64 v[18:19], v[162:163], s[44:45], v[16:17]
	v_fma_f64 v[16:17], v[162:163], s[34:35], v[16:17]
	v_add_f64 v[166:167], v[2:3], v[22:23]
	v_add_f64 v[4:5], v[8:9], v[4:5]
	v_mul_f64 v[8:9], v[164:165], s[38:39]
	v_add_f64 v[6:7], v[10:11], v[6:7]
	v_fma_f64 v[14:15], v[162:163], s[46:47], v[12:13]
	v_fma_f64 v[12:13], v[162:163], s[28:29], v[12:13]
	v_add_f64 v[160:161], v[2:3], v[18:19]
	v_add_f64 v[164:165], v[0:1], v[42:43]
	v_mul_f64 v[18:19], v[106:107], s[36:37]
	v_add_f64 v[42:43], v[2:3], v[20:21]
	v_fma_f64 v[10:11], v[162:163], s[42:43], v[8:9]
	v_fma_f64 v[8:9], v[162:163], s[40:41], v[8:9]
	v_add_f64 v[162:163], v[2:3], v[16:17]
	v_mul_f64 v[16:17], v[102:103], s[6:7]
	v_add_f64 v[158:159], v[2:3], v[12:13]
	v_add_f64 v[12:13], v[0:1], v[64:65]
	v_fma_f64 v[20:21], v[72:73], s[46:47], v[18:19]
	v_add_f64 v[152:153], v[2:3], v[14:15]
	v_add_f64 v[14:15], v[2:3], v[34:35]
	;; [unrolled: 1-line block ×4, first 2 shown]
	v_fma_f64 v[0:1], v[68:69], s[0:1], v[16:17]
	v_fma_f64 v[16:17], v[68:69], s[52:53], v[16:17]
	s_delay_alu instid0(VALU_DEP_2) | instskip(SKIP_1) | instid1(VALU_DEP_3)
	v_add_f64 v[0:1], v[0:1], v[10:11]
	v_mul_f64 v[10:11], v[98:99], s[52:53]
	v_add_f64 v[8:9], v[16:17], v[8:9]
	v_fma_f64 v[16:17], v[72:73], s[28:29], v[18:19]
	v_fma_f64 v[18:19], v[100:101], s[22:23], -v[180:181]
	v_add_f64 v[0:1], v[20:21], v[0:1]
	v_fma_f64 v[2:3], v[70:71], s[6:7], v[10:11]
	v_mul_f64 v[20:21], v[104:105], s[28:29]
	v_fma_f64 v[10:11], v[70:71], s[6:7], -v[10:11]
	v_add_f64 v[8:9], v[16:17], v[8:9]
	s_delay_alu instid0(VALU_DEP_4) | instskip(NEXT) | instid1(VALU_DEP_4)
	v_add_f64 v[2:3], v[2:3], v[52:53]
	v_fma_f64 v[22:23], v[74:75], s[36:37], v[20:21]
	s_delay_alu instid0(VALU_DEP_4) | instskip(SKIP_2) | instid1(VALU_DEP_4)
	v_add_f64 v[10:11], v[10:11], v[38:39]
	v_fma_f64 v[16:17], v[74:75], s[36:37], -v[20:21]
	v_mul_f64 v[20:21], v[102:103], s[16:17]
	v_add_f64 v[2:3], v[22:23], v[2:3]
	v_mul_f64 v[22:23], v[110:111], s[18:19]
	s_delay_alu instid0(VALU_DEP_4) | instskip(NEXT) | instid1(VALU_DEP_2)
	v_add_f64 v[10:11], v[16:17], v[10:11]
	v_fma_f64 v[32:33], v[76:77], s[10:11], v[22:23]
	v_fma_f64 v[16:17], v[76:77], s[54:55], v[22:23]
	v_mul_f64 v[22:23], v[98:99], s[50:51]
	s_delay_alu instid0(VALU_DEP_3) | instskip(SKIP_1) | instid1(VALU_DEP_4)
	v_add_f64 v[0:1], v[32:33], v[0:1]
	v_mul_f64 v[32:33], v[108:109], s[54:55]
	v_add_f64 v[8:9], v[16:17], v[8:9]
	s_delay_alu instid0(VALU_DEP_2) | instskip(SKIP_2) | instid1(VALU_DEP_3)
	v_fma_f64 v[34:35], v[78:79], s[18:19], v[32:33]
	v_fma_f64 v[16:17], v[78:79], s[18:19], -v[32:33]
	v_mul_f64 v[32:33], v[106:107], s[22:23]
	v_add_f64 v[2:3], v[34:35], v[2:3]
	v_mul_f64 v[34:35], v[114:115], s[30:31]
	s_delay_alu instid0(VALU_DEP_4) | instskip(NEXT) | instid1(VALU_DEP_2)
	v_add_f64 v[10:11], v[16:17], v[10:11]
	v_fma_f64 v[36:37], v[84:85], s[44:45], v[34:35]
	v_fma_f64 v[16:17], v[84:85], s[34:35], v[34:35]
	;; [unrolled: 1-line block ×4, first 2 shown]
	s_delay_alu instid0(VALU_DEP_4) | instskip(SKIP_2) | instid1(VALU_DEP_2)
	v_add_f64 v[0:1], v[36:37], v[0:1]
	v_mul_f64 v[36:37], v[112:113], s[34:35]
	v_add_f64 v[8:9], v[16:17], v[8:9]
	v_fma_f64 v[50:51], v[86:87], s[30:31], v[36:37]
	v_fma_f64 v[16:17], v[86:87], s[30:31], -v[36:37]
	s_delay_alu instid0(VALU_DEP_2) | instskip(SKIP_1) | instid1(VALU_DEP_3)
	v_add_f64 v[2:3], v[50:51], v[2:3]
	v_mul_f64 v[50:51], v[118:119], s[16:17]
	v_add_f64 v[10:11], v[16:17], v[10:11]
	s_delay_alu instid0(VALU_DEP_2) | instskip(SKIP_1) | instid1(VALU_DEP_2)
	v_fma_f64 v[52:53], v[88:89], s[8:9], v[50:51]
	v_fma_f64 v[16:17], v[88:89], s[50:51], v[50:51]
	v_add_f64 v[0:1], v[52:53], v[0:1]
	v_mul_f64 v[52:53], v[116:117], s[50:51]
	s_delay_alu instid0(VALU_DEP_3) | instskip(NEXT) | instid1(VALU_DEP_2)
	v_add_f64 v[8:9], v[16:17], v[8:9]
	v_fma_f64 v[64:65], v[90:91], s[16:17], v[52:53]
	v_fma_f64 v[16:17], v[90:91], s[16:17], -v[52:53]
	s_delay_alu instid0(VALU_DEP_2) | instskip(SKIP_1) | instid1(VALU_DEP_3)
	v_add_f64 v[2:3], v[64:65], v[2:3]
	v_mul_f64 v[64:65], v[122:123], s[24:25]
	v_add_f64 v[10:11], v[16:17], v[10:11]
	s_delay_alu instid0(VALU_DEP_2) | instskip(SKIP_1) | instid1(VALU_DEP_2)
	v_fma_f64 v[66:67], v[92:93], s[56:57], v[64:65]
	v_fma_f64 v[16:17], v[92:93], s[20:21], v[64:65]
	v_add_f64 v[0:1], v[66:67], v[0:1]
	v_mul_f64 v[66:67], v[120:121], s[20:21]
	s_delay_alu instid0(VALU_DEP_3) | instskip(NEXT) | instid1(VALU_DEP_2)
	v_add_f64 v[8:9], v[16:17], v[8:9]
	v_fma_f64 v[16:17], v[94:95], s[24:25], -v[66:67]
	v_fma_f64 v[176:177], v[94:95], s[24:25], v[66:67]
	s_delay_alu instid0(VALU_DEP_2) | instskip(SKIP_1) | instid1(VALU_DEP_3)
	v_add_f64 v[16:17], v[16:17], v[10:11]
	v_fma_f64 v[10:11], v[96:97], s[48:49], v[178:179]
	v_add_f64 v[176:177], v[176:177], v[2:3]
	v_fma_f64 v[2:3], v[96:97], s[26:27], v[178:179]
	v_mul_f64 v[178:179], v[126:127], s[24:25]
	s_delay_alu instid0(VALU_DEP_4)
	v_add_f64 v[10:11], v[10:11], v[8:9]
	v_add_f64 v[8:9], v[18:19], v[16:17]
	v_fma_f64 v[16:17], v[68:69], s[8:9], v[20:21]
	v_fma_f64 v[18:19], v[70:71], s[16:17], v[22:23]
	;; [unrolled: 1-line block ×3, first 2 shown]
	v_fma_f64 v[22:23], v[70:71], s[16:17], -v[22:23]
	v_add_f64 v[2:3], v[2:3], v[0:1]
	v_fma_f64 v[0:1], v[100:101], s[22:23], v[180:181]
	v_mul_f64 v[180:181], v[124:125], s[20:21]
	v_add_f64 v[16:17], v[16:17], v[152:153]
	v_add_f64 v[18:19], v[18:19], v[54:55]
	;; [unrolled: 1-line block ×4, first 2 shown]
	v_mul_f64 v[40:41], v[110:111], s[22:23]
	v_add_f64 v[0:1], v[0:1], v[176:177]
	v_mul_f64 v[158:159], v[104:105], s[42:43]
	v_add_f64 v[16:17], v[34:35], v[16:17]
	;; [unrolled: 2-line block ×3, first 2 shown]
	v_add_f64 v[40:41], v[138:139], v[40:41]
	v_mul_f64 v[138:139], v[112:113], s[46:47]
	s_delay_alu instid0(VALU_DEP_4) | instskip(SKIP_2) | instid1(VALU_DEP_3)
	v_fma_f64 v[36:37], v[74:75], s[22:23], v[34:35]
	v_fma_f64 v[32:33], v[74:75], s[22:23], -v[34:35]
	v_fma_f64 v[34:35], v[100:101], s[24:25], -v[180:181]
	v_add_f64 v[18:19], v[36:37], v[18:19]
	v_mul_f64 v[36:37], v[110:111], s[30:31]
	s_delay_alu instid0(VALU_DEP_4) | instskip(NEXT) | instid1(VALU_DEP_2)
	v_add_f64 v[22:23], v[32:33], v[22:23]
	v_fma_f64 v[38:39], v[76:77], s[34:35], v[36:37]
	v_fma_f64 v[32:33], v[76:77], s[44:45], v[36:37]
	v_mul_f64 v[36:37], v[106:107], s[16:17]
	s_delay_alu instid0(VALU_DEP_3) | instskip(SKIP_1) | instid1(VALU_DEP_4)
	v_add_f64 v[16:17], v[38:39], v[16:17]
	v_mul_f64 v[38:39], v[108:109], s[44:45]
	v_add_f64 v[20:21], v[32:33], v[20:21]
	s_delay_alu instid0(VALU_DEP_4) | instskip(SKIP_1) | instid1(VALU_DEP_4)
	v_add_f64 v[36:37], v[134:135], v[36:37]
	v_mul_f64 v[134:135], v[108:109], s[40:41]
	v_fma_f64 v[50:51], v[78:79], s[30:31], v[38:39]
	v_fma_f64 v[32:33], v[78:79], s[30:31], -v[38:39]
	v_mul_f64 v[38:39], v[74:75], s[16:17]
	s_delay_alu instid0(VALU_DEP_3) | instskip(SKIP_1) | instid1(VALU_DEP_4)
	v_add_f64 v[18:19], v[50:51], v[18:19]
	v_mul_f64 v[50:51], v[114:115], s[6:7]
	v_add_f64 v[22:23], v[32:33], v[22:23]
	s_delay_alu instid0(VALU_DEP_4) | instskip(SKIP_1) | instid1(VALU_DEP_4)
	v_add_f64 v[38:39], v[38:39], -v[132:133]
	v_mul_f64 v[132:133], v[110:111], s[38:39]
	v_fma_f64 v[52:53], v[84:85], s[52:53], v[50:51]
	v_fma_f64 v[32:33], v[84:85], s[0:1], v[50:51]
	v_mul_f64 v[50:51], v[78:79], s[22:23]
	s_delay_alu instid0(VALU_DEP_3) | instskip(SKIP_1) | instid1(VALU_DEP_4)
	v_add_f64 v[16:17], v[52:53], v[16:17]
	v_mul_f64 v[52:53], v[112:113], s[0:1]
	v_add_f64 v[20:21], v[32:33], v[20:21]
	s_delay_alu instid0(VALU_DEP_4) | instskip(SKIP_1) | instid1(VALU_DEP_4)
	v_add_f64 v[50:51], v[50:51], -v[136:137]
	v_mul_f64 v[136:137], v[114:115], s[36:37]
	v_fma_f64 v[54:55], v[86:87], s[6:7], v[52:53]
	v_fma_f64 v[32:33], v[86:87], s[6:7], -v[52:53]
	v_mul_f64 v[52:53], v[114:115], s[24:25]
	s_delay_alu instid0(VALU_DEP_3) | instskip(SKIP_1) | instid1(VALU_DEP_4)
	v_add_f64 v[18:19], v[54:55], v[18:19]
	v_mul_f64 v[54:55], v[118:119], s[38:39]
	v_add_f64 v[22:23], v[32:33], v[22:23]
	s_delay_alu instid0(VALU_DEP_4) | instskip(SKIP_1) | instid1(VALU_DEP_4)
	v_add_f64 v[52:53], v[142:143], v[52:53]
	v_mul_f64 v[142:143], v[116:117], s[56:57]
	v_fma_f64 v[64:65], v[88:89], s[42:43], v[54:55]
	v_fma_f64 v[32:33], v[88:89], s[40:41], v[54:55]
	v_mul_f64 v[54:55], v[86:87], s[24:25]
	s_delay_alu instid0(VALU_DEP_3) | instskip(SKIP_1) | instid1(VALU_DEP_4)
	v_add_f64 v[16:17], v[64:65], v[16:17]
	v_mul_f64 v[64:65], v[116:117], s[40:41]
	v_add_f64 v[20:21], v[32:33], v[20:21]
	s_delay_alu instid0(VALU_DEP_4) | instskip(SKIP_1) | instid1(VALU_DEP_4)
	v_add_f64 v[54:55], v[54:55], -v[140:141]
	v_mul_f64 v[140:141], v[118:119], s[24:25]
	v_fma_f64 v[66:67], v[90:91], s[38:39], v[64:65]
	v_fma_f64 v[32:33], v[90:91], s[38:39], -v[64:65]
	v_mul_f64 v[64:65], v[118:119], s[30:31]
	s_delay_alu instid0(VALU_DEP_3) | instskip(SKIP_1) | instid1(VALU_DEP_4)
	v_add_f64 v[18:19], v[66:67], v[18:19]
	v_mul_f64 v[66:67], v[122:123], s[18:19]
	v_add_f64 v[22:23], v[32:33], v[22:23]
	s_delay_alu instid0(VALU_DEP_4) | instskip(SKIP_1) | instid1(VALU_DEP_4)
	v_add_f64 v[64:65], v[146:147], v[64:65]
	v_mul_f64 v[146:147], v[120:121], s[50:51]
	v_fma_f64 v[152:153], v[92:93], s[10:11], v[66:67]
	v_fma_f64 v[32:33], v[92:93], s[54:55], v[66:67]
	v_mul_f64 v[66:67], v[98:99], s[26:27]
	s_delay_alu instid0(VALU_DEP_3) | instskip(SKIP_1) | instid1(VALU_DEP_4)
	v_add_f64 v[16:17], v[152:153], v[16:17]
	v_mul_f64 v[152:153], v[120:121], s[54:55]
	v_add_f64 v[20:21], v[32:33], v[20:21]
	s_delay_alu instid0(VALU_DEP_2) | instskip(SKIP_2) | instid1(VALU_DEP_3)
	v_fma_f64 v[32:33], v[94:95], s[18:19], -v[152:153]
	v_fma_f64 v[176:177], v[94:95], s[18:19], v[152:153]
	v_mul_f64 v[152:153], v[102:103], s[30:31]
	v_add_f64 v[32:33], v[32:33], v[22:23]
	v_fma_f64 v[22:23], v[96:97], s[20:21], v[178:179]
	s_delay_alu instid0(VALU_DEP_4) | instskip(SKIP_2) | instid1(VALU_DEP_4)
	v_add_f64 v[176:177], v[176:177], v[18:19]
	v_fma_f64 v[18:19], v[96:97], s[56:57], v[178:179]
	v_mul_f64 v[178:179], v[114:115], s[18:19]
	v_add_f64 v[22:23], v[22:23], v[20:21]
	v_add_f64 v[20:21], v[34:35], v[32:33]
	v_mul_f64 v[32:33], v[102:103], s[18:19]
	v_mul_f64 v[34:35], v[70:71], s[18:19]
	v_add_f64 v[18:19], v[18:19], v[16:17]
	v_fma_f64 v[16:17], v[100:101], s[24:25], v[180:181]
	v_mul_f64 v[180:181], v[112:113], s[54:55]
	v_add_f64 v[32:33], v[130:131], v[32:33]
	v_add_f64 v[34:35], v[34:35], -v[128:129]
	v_mul_f64 v[128:129], v[106:107], s[30:31]
	v_mul_f64 v[130:131], v[104:105], s[34:35]
	v_add_f64 v[16:17], v[16:17], v[176:177]
	v_mul_f64 v[176:177], v[108:109], s[56:57]
	v_add_f64 v[24:25], v[32:33], v[24:25]
	v_add_f64 v[26:27], v[34:35], v[26:27]
	v_mul_f64 v[32:33], v[90:91], s[30:31]
	v_mul_f64 v[34:35], v[122:123], s[36:37]
	s_delay_alu instid0(VALU_DEP_4) | instskip(NEXT) | instid1(VALU_DEP_4)
	v_add_f64 v[24:25], v[36:37], v[24:25]
	v_add_f64 v[26:27], v[38:39], v[26:27]
	s_delay_alu instid0(VALU_DEP_4)
	v_add_f64 v[32:33], v[32:33], -v[144:145]
	v_mul_f64 v[36:37], v[94:95], s[36:37]
	v_add_f64 v[34:35], v[150:151], v[34:35]
	v_mul_f64 v[38:39], v[126:127], s[38:39]
	v_mul_f64 v[144:145], v[122:123], s[16:17]
	v_mul_f64 v[150:151], v[124:125], s[52:53]
	v_mul_f64 v[124:125], v[124:125], s[50:51]
	v_add_f64 v[24:25], v[40:41], v[24:25]
	v_add_f64 v[26:27], v[50:51], v[26:27]
	v_fma_f64 v[40:41], v[72:73], s[56:57], v[196:197]
	v_add_f64 v[36:37], v[36:37], -v[148:149]
	v_mul_f64 v[148:149], v[126:127], s[6:7]
	v_add_f64 v[38:39], v[156:157], v[38:39]
	v_mul_f64 v[156:157], v[106:107], s[38:39]
	v_mul_f64 v[50:51], v[98:99], s[56:57]
	v_add_f64 v[24:25], v[52:53], v[24:25]
	v_add_f64 v[26:27], v[54:55], v[26:27]
	v_mul_f64 v[52:53], v[102:103], s[36:37]
	v_mul_f64 v[54:55], v[98:99], s[46:47]
	s_delay_alu instid0(VALU_DEP_4) | instskip(NEXT) | instid1(VALU_DEP_4)
	v_add_f64 v[24:25], v[64:65], v[24:25]
	v_add_f64 v[26:27], v[32:33], v[26:27]
	v_mul_f64 v[32:33], v[100:101], s[38:39]
	v_mul_f64 v[64:65], v[102:103], s[22:23]
	s_delay_alu instid0(VALU_DEP_4) | instskip(NEXT) | instid1(VALU_DEP_4)
	v_add_f64 v[24:25], v[34:35], v[24:25]
	v_add_f64 v[34:35], v[36:37], v[26:27]
	s_delay_alu instid0(VALU_DEP_4) | instskip(SKIP_3) | instid1(VALU_DEP_4)
	v_add_f64 v[32:33], v[32:33], -v[154:155]
	v_mul_f64 v[154:155], v[98:99], s[34:35]
	v_fma_f64 v[36:37], v[72:73], s[42:43], v[156:157]
	v_add_f64 v[26:27], v[38:39], v[24:25]
	v_add_f64 v[24:25], v[32:33], v[34:35]
	v_fma_f64 v[32:33], v[68:69], s[26:27], v[64:65]
	v_fma_f64 v[34:35], v[70:71], s[30:31], -v[154:155]
	v_fma_f64 v[64:65], v[68:69], s[48:49], v[64:65]
	s_delay_alu instid0(VALU_DEP_3) | instskip(SKIP_1) | instid1(VALU_DEP_4)
	v_add_f64 v[28:29], v[32:33], v[28:29]
	v_fma_f64 v[32:33], v[70:71], s[22:23], -v[66:67]
	v_add_f64 v[34:35], v[34:35], v[48:49]
	v_mul_f64 v[48:49], v[102:103], s[24:25]
	v_fma_f64 v[66:67], v[70:71], s[22:23], v[66:67]
	v_add_f64 v[14:15], v[64:65], v[14:15]
	v_fma_f64 v[64:65], v[74:75], s[30:31], v[130:131]
	v_add_f64 v[30:31], v[32:33], v[30:31]
	;; [unrolled: 2-line block ×3, first 2 shown]
	v_fma_f64 v[66:67], v[76:77], s[42:43], v[132:133]
	s_delay_alu instid0(VALU_DEP_3) | instskip(SKIP_1) | instid1(VALU_DEP_4)
	v_add_f64 v[28:29], v[32:33], v[28:29]
	v_fma_f64 v[32:33], v[74:75], s[30:31], -v[130:131]
	v_add_f64 v[12:13], v[64:65], v[12:13]
	v_fma_f64 v[64:65], v[84:85], s[28:29], v[136:137]
	s_delay_alu instid0(VALU_DEP_3) | instskip(SKIP_1) | instid1(VALU_DEP_1)
	v_add_f64 v[30:31], v[32:33], v[30:31]
	v_fma_f64 v[32:33], v[76:77], s[40:41], v[132:133]
	v_add_f64 v[28:29], v[32:33], v[28:29]
	v_fma_f64 v[32:33], v[78:79], s[38:39], -v[134:135]
	s_delay_alu instid0(VALU_DEP_1) | instskip(SKIP_1) | instid1(VALU_DEP_1)
	v_add_f64 v[30:31], v[32:33], v[30:31]
	v_fma_f64 v[32:33], v[84:85], s[46:47], v[136:137]
	v_add_f64 v[28:29], v[32:33], v[28:29]
	v_fma_f64 v[32:33], v[86:87], s[36:37], -v[138:139]
	s_delay_alu instid0(VALU_DEP_1) | instskip(SKIP_1) | instid1(VALU_DEP_1)
	;; [unrolled: 5-line block ×5, first 2 shown]
	v_add_f64 v[28:29], v[28:29], v[32:33]
	v_fma_f64 v[32:33], v[68:69], s[34:35], v[152:153]
	v_add_f64 v[32:33], v[32:33], v[174:175]
	v_mul_f64 v[174:175], v[110:111], s[24:25]
	s_delay_alu instid0(VALU_DEP_2) | instskip(SKIP_1) | instid1(VALU_DEP_1)
	v_add_f64 v[32:33], v[36:37], v[32:33]
	v_fma_f64 v[36:37], v[74:75], s[38:39], -v[158:159]
	v_add_f64 v[34:35], v[36:37], v[34:35]
	s_delay_alu instid0(VALU_DEP_4) | instskip(NEXT) | instid1(VALU_DEP_1)
	v_fma_f64 v[36:37], v[76:77], s[56:57], v[174:175]
	v_add_f64 v[32:33], v[36:37], v[32:33]
	v_fma_f64 v[36:37], v[78:79], s[24:25], -v[176:177]
	s_delay_alu instid0(VALU_DEP_1) | instskip(SKIP_1) | instid1(VALU_DEP_1)
	v_add_f64 v[34:35], v[36:37], v[34:35]
	v_fma_f64 v[36:37], v[84:85], s[54:55], v[178:179]
	v_add_f64 v[32:33], v[36:37], v[32:33]
	v_fma_f64 v[36:37], v[86:87], s[18:19], -v[180:181]
	s_delay_alu instid0(VALU_DEP_1) | instskip(SKIP_1) | instid1(VALU_DEP_1)
	v_add_f64 v[34:35], v[36:37], v[34:35]
	;; [unrolled: 5-line block ×5, first 2 shown]
	v_fma_f64 v[36:37], v[68:69], s[40:41], v[194:195]
	v_add_f64 v[36:37], v[36:37], v[170:171]
	v_mul_f64 v[170:171], v[98:99], s[40:41]
	v_mul_f64 v[98:99], v[106:107], s[6:7]
	s_delay_alu instid0(VALU_DEP_3) | instskip(NEXT) | instid1(VALU_DEP_3)
	v_add_f64 v[36:37], v[40:41], v[36:37]
	v_fma_f64 v[38:39], v[70:71], s[38:39], -v[170:171]
	v_fma_f64 v[40:41], v[74:75], s[24:25], -v[198:199]
	s_delay_alu instid0(VALU_DEP_4) | instskip(NEXT) | instid1(VALU_DEP_3)
	v_fma_f64 v[102:103], v[72:73], s[0:1], v[98:99]
	v_add_f64 v[38:39], v[38:39], v[46:47]
	v_fma_f64 v[46:47], v[70:71], s[24:25], -v[50:51]
	v_fma_f64 v[50:51], v[70:71], s[24:25], v[50:51]
	s_delay_alu instid0(VALU_DEP_3) | instskip(SKIP_1) | instid1(VALU_DEP_4)
	v_add_f64 v[38:39], v[40:41], v[38:39]
	v_fma_f64 v[40:41], v[76:77], s[52:53], v[200:201]
	v_add_f64 v[46:47], v[46:47], v[164:165]
	s_delay_alu instid0(VALU_DEP_4) | instskip(SKIP_4) | instid1(VALU_DEP_1)
	v_add_f64 v[50:51], v[50:51], v[56:57]
	v_fma_f64 v[56:57], v[72:73], s[52:53], v[98:99]
	v_fma_f64 v[98:99], v[100:101], s[16:17], v[124:125]
	v_add_f64 v[36:37], v[40:41], v[36:37]
	v_fma_f64 v[40:41], v[78:79], s[6:7], -v[202:203]
	v_add_f64 v[38:39], v[40:41], v[38:39]
	v_fma_f64 v[40:41], v[84:85], s[8:9], v[204:205]
	s_delay_alu instid0(VALU_DEP_1) | instskip(SKIP_1) | instid1(VALU_DEP_1)
	v_add_f64 v[36:37], v[40:41], v[36:37]
	v_fma_f64 v[40:41], v[86:87], s[16:17], -v[206:207]
	v_add_f64 v[38:39], v[40:41], v[38:39]
	v_fma_f64 v[40:41], v[88:89], s[28:29], v[208:209]
	s_delay_alu instid0(VALU_DEP_1) | instskip(SKIP_1) | instid1(VALU_DEP_1)
	;; [unrolled: 5-line block ×4, first 2 shown]
	v_add_f64 v[38:39], v[38:39], v[36:37]
	v_fma_f64 v[36:37], v[100:101], s[18:19], -v[218:219]
	v_add_f64 v[36:37], v[36:37], v[40:41]
	v_fma_f64 v[40:41], v[68:69], s[46:47], v[52:53]
	v_fma_f64 v[52:53], v[68:69], s[28:29], v[52:53]
	s_delay_alu instid0(VALU_DEP_2) | instskip(SKIP_1) | instid1(VALU_DEP_3)
	v_add_f64 v[40:41], v[40:41], v[42:43]
	v_fma_f64 v[42:43], v[70:71], s[36:37], -v[54:55]
	v_add_f64 v[52:53], v[52:53], v[166:167]
	v_fma_f64 v[54:55], v[70:71], s[36:37], v[54:55]
	s_delay_alu instid0(VALU_DEP_3) | instskip(SKIP_1) | instid1(VALU_DEP_3)
	v_add_f64 v[42:43], v[42:43], v[44:45]
	v_fma_f64 v[44:45], v[72:73], s[54:55], v[220:221]
	v_add_f64 v[54:55], v[54:55], v[58:59]
	v_fma_f64 v[58:59], v[100:101], s[30:31], v[242:243]
	s_delay_alu instid0(VALU_DEP_3) | instskip(SKIP_1) | instid1(VALU_DEP_1)
	v_add_f64 v[40:41], v[44:45], v[40:41]
	v_fma_f64 v[44:45], v[74:75], s[18:19], -v[222:223]
	v_add_f64 v[42:43], v[44:45], v[42:43]
	v_fma_f64 v[44:45], v[76:77], s[8:9], v[224:225]
	s_delay_alu instid0(VALU_DEP_1) | instskip(SKIP_1) | instid1(VALU_DEP_1)
	v_add_f64 v[40:41], v[44:45], v[40:41]
	v_fma_f64 v[44:45], v[78:79], s[16:17], -v[226:227]
	v_add_f64 v[42:43], v[44:45], v[42:43]
	v_fma_f64 v[44:45], v[84:85], s[40:41], v[228:229]
	s_delay_alu instid0(VALU_DEP_1) | instskip(SKIP_1) | instid1(VALU_DEP_1)
	;; [unrolled: 5-line block ×5, first 2 shown]
	v_add_f64 v[42:43], v[42:43], v[40:41]
	v_fma_f64 v[40:41], v[100:101], s[30:31], -v[242:243]
	v_add_f64 v[40:41], v[40:41], v[44:45]
	v_fma_f64 v[44:45], v[68:69], s[56:57], v[48:49]
	v_fma_f64 v[48:49], v[68:69], s[20:21], v[48:49]
	s_delay_alu instid0(VALU_DEP_2) | instskip(NEXT) | instid1(VALU_DEP_2)
	v_add_f64 v[44:45], v[44:45], v[162:163]
	v_add_f64 v[48:49], v[48:49], v[160:161]
	s_delay_alu instid0(VALU_DEP_2) | instskip(SKIP_1) | instid1(VALU_DEP_3)
	v_add_f64 v[44:45], v[102:103], v[44:45]
	v_mul_f64 v[102:103], v[104:105], s[0:1]
	v_add_f64 v[48:49], v[56:57], v[48:49]
	s_delay_alu instid0(VALU_DEP_2) | instskip(SKIP_2) | instid1(VALU_DEP_3)
	v_fma_f64 v[104:105], v[74:75], s[6:7], -v[102:103]
	v_fma_f64 v[56:57], v[74:75], s[6:7], v[102:103]
	v_fma_f64 v[102:103], v[100:101], s[36:37], v[192:193]
	v_add_f64 v[46:47], v[104:105], v[46:47]
	v_mul_f64 v[104:105], v[110:111], s[36:37]
	s_delay_alu instid0(VALU_DEP_4) | instskip(NEXT) | instid1(VALU_DEP_2)
	v_add_f64 v[50:51], v[56:57], v[50:51]
	v_fma_f64 v[106:107], v[76:77], s[28:29], v[104:105]
	v_fma_f64 v[56:57], v[76:77], s[46:47], v[104:105]
	s_delay_alu instid0(VALU_DEP_2) | instskip(SKIP_1) | instid1(VALU_DEP_3)
	v_add_f64 v[44:45], v[106:107], v[44:45]
	v_mul_f64 v[106:107], v[108:109], s[28:29]
	v_add_f64 v[48:49], v[56:57], v[48:49]
	s_delay_alu instid0(VALU_DEP_2) | instskip(SKIP_1) | instid1(VALU_DEP_2)
	v_fma_f64 v[108:109], v[78:79], s[36:37], -v[106:107]
	v_fma_f64 v[56:57], v[78:79], s[36:37], v[106:107]
	v_add_f64 v[46:47], v[108:109], v[46:47]
	v_mul_f64 v[108:109], v[114:115], s[22:23]
	s_delay_alu instid0(VALU_DEP_3) | instskip(NEXT) | instid1(VALU_DEP_2)
	v_add_f64 v[50:51], v[56:57], v[50:51]
	v_fma_f64 v[110:111], v[84:85], s[48:49], v[108:109]
	v_fma_f64 v[56:57], v[84:85], s[26:27], v[108:109]
	s_delay_alu instid0(VALU_DEP_2) | instskip(SKIP_1) | instid1(VALU_DEP_3)
	v_add_f64 v[44:45], v[110:111], v[44:45]
	v_mul_f64 v[110:111], v[112:113], s[48:49]
	v_add_f64 v[48:49], v[56:57], v[48:49]
	s_delay_alu instid0(VALU_DEP_2) | instskip(SKIP_1) | instid1(VALU_DEP_2)
	v_fma_f64 v[112:113], v[86:87], s[22:23], -v[110:111]
	v_fma_f64 v[56:57], v[86:87], s[22:23], v[110:111]
	v_add_f64 v[46:47], v[112:113], v[46:47]
	v_mul_f64 v[112:113], v[118:119], s[18:19]
	s_delay_alu instid0(VALU_DEP_3) | instskip(NEXT) | instid1(VALU_DEP_2)
	v_add_f64 v[50:51], v[56:57], v[50:51]
	v_fma_f64 v[114:115], v[88:89], s[10:11], v[112:113]
	v_fma_f64 v[56:57], v[88:89], s[54:55], v[112:113]
	s_delay_alu instid0(VALU_DEP_2) | instskip(SKIP_1) | instid1(VALU_DEP_3)
	v_add_f64 v[44:45], v[114:115], v[44:45]
	v_mul_f64 v[114:115], v[116:117], s[10:11]
	v_add_f64 v[48:49], v[56:57], v[48:49]
	s_delay_alu instid0(VALU_DEP_2) | instskip(SKIP_1) | instid1(VALU_DEP_2)
	v_fma_f64 v[116:117], v[90:91], s[18:19], -v[114:115]
	v_fma_f64 v[56:57], v[90:91], s[18:19], v[114:115]
	v_add_f64 v[46:47], v[116:117], v[46:47]
	v_mul_f64 v[116:117], v[122:123], s[38:39]
	s_delay_alu instid0(VALU_DEP_3) | instskip(SKIP_1) | instid1(VALU_DEP_3)
	v_add_f64 v[50:51], v[56:57], v[50:51]
	v_mul_f64 v[122:123], v[126:127], s[16:17]
	v_fma_f64 v[118:119], v[92:93], s[40:41], v[116:117]
	v_fma_f64 v[56:57], v[92:93], s[42:43], v[116:117]
	s_delay_alu instid0(VALU_DEP_2) | instskip(SKIP_1) | instid1(VALU_DEP_3)
	v_add_f64 v[44:45], v[118:119], v[44:45]
	v_mul_f64 v[118:119], v[120:121], s[40:41]
	v_add_f64 v[48:49], v[56:57], v[48:49]
	s_delay_alu instid0(VALU_DEP_2) | instskip(SKIP_1) | instid1(VALU_DEP_2)
	v_fma_f64 v[56:57], v[94:95], s[38:39], v[118:119]
	v_fma_f64 v[120:121], v[94:95], s[38:39], -v[118:119]
	v_add_f64 v[56:57], v[56:57], v[50:51]
	v_fma_f64 v[50:51], v[96:97], s[8:9], v[122:123]
	s_delay_alu instid0(VALU_DEP_3) | instskip(SKIP_1) | instid1(VALU_DEP_3)
	v_add_f64 v[120:121], v[120:121], v[46:47]
	v_fma_f64 v[46:47], v[96:97], s[50:51], v[122:123]
	v_add_f64 v[50:51], v[50:51], v[48:49]
	v_add_f64 v[48:49], v[98:99], v[56:57]
	v_fma_f64 v[56:57], v[72:73], s[10:11], v[220:221]
	v_fma_f64 v[98:99], v[100:101], s[18:19], v[218:219]
	v_add_f64 v[46:47], v[46:47], v[44:45]
	v_fma_f64 v[44:45], v[100:101], s[16:17], -v[124:125]
	s_delay_alu instid0(VALU_DEP_4) | instskip(SKIP_1) | instid1(VALU_DEP_3)
	v_add_f64 v[52:53], v[56:57], v[52:53]
	v_fma_f64 v[56:57], v[74:75], s[18:19], v[222:223]
	v_add_f64 v[44:45], v[44:45], v[120:121]
	s_delay_alu instid0(VALU_DEP_2) | instskip(SKIP_1) | instid1(VALU_DEP_1)
	v_add_f64 v[54:55], v[56:57], v[54:55]
	v_fma_f64 v[56:57], v[76:77], s[50:51], v[224:225]
	v_add_f64 v[52:53], v[56:57], v[52:53]
	v_fma_f64 v[56:57], v[78:79], s[16:17], v[226:227]
	s_delay_alu instid0(VALU_DEP_1) | instskip(SKIP_1) | instid1(VALU_DEP_1)
	v_add_f64 v[54:55], v[56:57], v[54:55]
	v_fma_f64 v[56:57], v[84:85], s[42:43], v[228:229]
	v_add_f64 v[52:53], v[56:57], v[52:53]
	v_fma_f64 v[56:57], v[86:87], s[38:39], v[230:231]
	s_delay_alu instid0(VALU_DEP_1) | instskip(SKIP_1) | instid1(VALU_DEP_1)
	;; [unrolled: 5-line block ×4, first 2 shown]
	v_add_f64 v[56:57], v[56:57], v[54:55]
	v_fma_f64 v[54:55], v[96:97], s[44:45], v[240:241]
	v_add_f64 v[54:55], v[54:55], v[52:53]
	s_delay_alu instid0(VALU_DEP_3) | instskip(SKIP_2) | instid1(VALU_DEP_2)
	v_add_f64 v[52:53], v[58:59], v[56:57]
	v_fma_f64 v[56:57], v[68:69], s[42:43], v[194:195]
	v_fma_f64 v[58:59], v[70:71], s[38:39], v[170:171]
	v_add_f64 v[56:57], v[56:57], v[168:169]
	s_delay_alu instid0(VALU_DEP_2) | instskip(SKIP_1) | instid1(VALU_DEP_1)
	v_add_f64 v[58:59], v[58:59], v[60:61]
	v_fma_f64 v[60:61], v[72:73], s[20:21], v[196:197]
	v_add_f64 v[56:57], v[60:61], v[56:57]
	v_fma_f64 v[60:61], v[74:75], s[24:25], v[198:199]
	s_delay_alu instid0(VALU_DEP_1) | instskip(SKIP_1) | instid1(VALU_DEP_1)
	v_add_f64 v[58:59], v[60:61], v[58:59]
	v_fma_f64 v[60:61], v[76:77], s[0:1], v[200:201]
	v_add_f64 v[56:57], v[60:61], v[56:57]
	v_fma_f64 v[60:61], v[78:79], s[6:7], v[202:203]
	s_delay_alu instid0(VALU_DEP_1) | instskip(SKIP_1) | instid1(VALU_DEP_1)
	;; [unrolled: 5-line block ×5, first 2 shown]
	v_add_f64 v[60:61], v[60:61], v[58:59]
	v_fma_f64 v[58:59], v[96:97], s[10:11], v[216:217]
	v_add_f64 v[58:59], v[58:59], v[56:57]
	s_delay_alu instid0(VALU_DEP_3) | instskip(SKIP_3) | instid1(VALU_DEP_3)
	v_add_f64 v[56:57], v[98:99], v[60:61]
	v_fma_f64 v[60:61], v[68:69], s[44:45], v[152:153]
	v_fma_f64 v[98:99], v[70:71], s[30:31], v[154:155]
	;; [unrolled: 1-line block ×3, first 2 shown]
	v_add_f64 v[60:61], v[60:61], v[172:173]
	s_delay_alu instid0(VALU_DEP_3) | instskip(SKIP_1) | instid1(VALU_DEP_4)
	v_add_f64 v[62:63], v[98:99], v[62:63]
	v_fma_f64 v[98:99], v[72:73], s[40:41], v[156:157]
	v_add_f64 v[14:15], v[68:69], v[14:15]
	v_fma_f64 v[68:69], v[78:79], s[38:39], v[134:135]
	s_delay_alu instid0(VALU_DEP_3) | instskip(SKIP_1) | instid1(VALU_DEP_4)
	v_add_f64 v[60:61], v[98:99], v[60:61]
	v_fma_f64 v[98:99], v[74:75], s[38:39], v[158:159]
	v_add_f64 v[14:15], v[66:67], v[14:15]
	v_fma_f64 v[66:67], v[86:87], s[36:37], v[138:139]
	;; [unrolled: 2-line block ×11, first 2 shown]
	v_add_f64 v[12:13], v[68:69], v[12:13]
	s_delay_alu instid0(VALU_DEP_4) | instskip(SKIP_2) | instid1(VALU_DEP_4)
	v_add_f64 v[60:61], v[98:99], v[60:61]
	v_fma_f64 v[98:99], v[86:87], s[18:19], v[180:181]
	v_add_f64 v[14:15], v[64:65], v[14:15]
	v_add_f64 v[12:13], v[66:67], v[12:13]
	v_mul_lo_u16 v64, v248, 17
	s_delay_alu instid0(VALU_DEP_1) | instskip(NEXT) | instid1(VALU_DEP_1)
	v_and_b32_e32 v64, 0xffff, v64
	v_lshlrev_b32_e32 v64, 4, v64
	v_add_f64 v[62:63], v[98:99], v[62:63]
	v_fma_f64 v[98:99], v[88:89], s[52:53], v[182:183]
	s_delay_alu instid0(VALU_DEP_1) | instskip(SKIP_1) | instid1(VALU_DEP_1)
	v_add_f64 v[60:61], v[98:99], v[60:61]
	v_fma_f64 v[98:99], v[90:91], s[6:7], v[184:185]
	v_add_f64 v[62:63], v[98:99], v[62:63]
	v_fma_f64 v[98:99], v[92:93], s[48:49], v[186:187]
	s_delay_alu instid0(VALU_DEP_1) | instskip(SKIP_1) | instid1(VALU_DEP_1)
	v_add_f64 v[60:61], v[98:99], v[60:61]
	v_fma_f64 v[98:99], v[94:95], s[22:23], v[188:189]
	v_add_f64 v[98:99], v[98:99], v[62:63]
	v_fma_f64 v[62:63], v[96:97], s[46:47], v[190:191]
	s_delay_alu instid0(VALU_DEP_1) | instskip(NEXT) | instid1(VALU_DEP_3)
	v_add_f64 v[62:63], v[62:63], v[60:61]
	v_add_f64 v[60:61], v[102:103], v[98:99]
	ds_store_b128 v64, v[4:7]
	ds_store_b128 v64, v[24:27] offset:16
	ds_store_b128 v64, v[28:31] offset:32
	ds_store_b128 v64, v[32:35] offset:48
	ds_store_b128 v64, v[36:39] offset:64
	ds_store_b128 v64, v[40:43] offset:80
	ds_store_b128 v64, v[44:47] offset:96
	ds_store_b128 v64, v[20:23] offset:112
	ds_store_b128 v64, v[8:11] offset:128
	ds_store_b128 v64, v[0:3] offset:144
	ds_store_b128 v64, v[16:19] offset:160
	ds_store_b128 v64, v[48:51] offset:176
	ds_store_b128 v64, v[52:55] offset:192
	ds_store_b128 v64, v[56:59] offset:208
	ds_store_b128 v64, v[60:63] offset:224
	ds_store_b128 v64, v[12:15] offset:240
	ds_store_b128 v64, v[80:83] offset:256
.LBB0_7:
	s_or_b32 exec_lo, exec_lo, s33
	v_add_nc_u16 v2, v248, 51
	v_add_nc_u16 v3, v248, 0x66
	v_and_b32_e32 v0, 0xff, v248
	v_add_nc_u16 v4, v248, 0x99
	v_add_nc_u16 v9, v248, 0xcc
	v_and_b32_e32 v1, 0xff, v2
	v_and_b32_e32 v5, 0xff, v3
	v_mul_lo_u16 v0, 0xf1, v0
	v_add_nc_u16 v10, v248, 0xff
	v_add_nc_u16 v11, v248, 0x132
	v_mul_lo_u16 v6, 0xf1, v1
	v_mul_lo_u16 v8, 0xf1, v5
	v_lshrrev_b16 v36, 12, v0
	v_and_b32_e32 v5, 0xff, v4
	v_and_b32_e32 v16, 0xff, v9
	v_lshrrev_b16 v37, 12, v6
	v_lshrrev_b16 v38, 12, v8
	v_mul_lo_u16 v0, v36, 17
	v_add_nc_u16 v12, v248, 0x165
	v_and_b32_e32 v15, 0xffff, v10
	v_mul_lo_u16 v1, v37, 17
	v_mul_lo_u16 v7, v38, 17
	v_sub_nc_u16 v39, v248, v0
	v_and_b32_e32 v14, 0xffff, v11
	v_mul_lo_u16 v17, 0xf1, v5
	v_sub_nc_u16 v0, v2, v1
	v_sub_nc_u16 v1, v3, v7
	v_and_b32_e32 v7, 0xff, v39
	v_mul_lo_u16 v5, 0xf1, v16
	v_and_b32_e32 v13, 0xffff, v12
	v_and_b32_e32 v108, 0xff, v0
	;; [unrolled: 1-line block ×3, first 2 shown]
	v_lshlrev_b32_e32 v0, 4, v7
	v_mul_u32_u24_e32 v7, 0xf0f1, v15
	s_load_b128 s[4:7], s[4:5], 0x0
	v_lshlrev_b32_e32 v1, 4, v108
	s_waitcnt lgkmcnt(0)
	s_barrier
	buffer_gl0_inv
	s_clause 0x1
	global_load_b128 v[92:95], v0, s[2:3]
	global_load_b128 v[88:91], v1, s[2:3]
	v_lshrrev_b16 v110, 12, v17
	v_lshrrev_b16 v111, 12, v5
	v_mul_u32_u24_e32 v0, 0xf0f1, v14
	v_mul_u32_u24_e32 v1, 0xf0f1, v13
	v_lshrrev_b32_e32 v112, 20, v7
	v_mul_lo_u16 v19, v110, 17
	v_mul_lo_u16 v20, v111, 17
	v_lshrrev_b32_e32 v113, 20, v0
	v_lshrrev_b32_e32 v114, 20, v1
	v_mul_lo_u16 v1, v112, 17
	v_sub_nc_u16 v0, v4, v19
	v_sub_nc_u16 v19, v9, v20
	v_mul_lo_u16 v20, v113, 17
	v_mul_lo_u16 v21, v114, 17
	v_sub_nc_u16 v116, v10, v1
	v_and_b32_e32 v115, 0xff, v0
	v_and_b32_e32 v117, 0xff, v19
	v_sub_nc_u16 v118, v11, v20
	v_sub_nc_u16 v119, v12, v21
	v_and_b32_e32 v1, 0xffff, v116
	v_lshlrev_b32_e32 v18, 4, v109
	v_lshlrev_b32_e32 v0, 4, v115
	v_and_b32_e32 v20, 0xffff, v118
	v_and_b32_e32 v21, 0xffff, v119
	v_lshlrev_b32_e32 v19, 4, v117
	v_lshlrev_b32_e32 v1, 4, v1
	s_clause 0x1
	global_load_b128 v[96:99], v18, s[2:3]
	global_load_b128 v[100:103], v0, s[2:3]
	v_lshlrev_b32_e32 v0, 4, v20
	v_lshlrev_b32_e32 v18, 4, v21
	s_clause 0x3
	global_load_b128 v[104:107], v19, s[2:3]
	global_load_b128 v[128:131], v1, s[2:3]
	global_load_b128 v[124:127], v0, s[2:3]
	global_load_b128 v[120:123], v18, s[2:3]
	v_and_b32_e32 v0, 0xffff, v248
	v_cmp_gt_u16_e64 s0, 17, v248
                                        ; implicit-def: $vgpr148_vgpr149
	s_delay_alu instid0(VALU_DEP_2)
	v_lshlrev_b32_e32 v236, 4, v0
	ds_load_b128 v[18:21], v236 offset:6528
	ds_load_b128 v[22:25], v236 offset:7344
	;; [unrolled: 1-line block ×8, first 2 shown]
	s_waitcnt vmcnt(7) lgkmcnt(7)
	v_mul_f64 v[0:1], v[20:21], v[94:95]
	v_mul_f64 v[30:31], v[18:19], v[94:95]
	s_waitcnt vmcnt(6) lgkmcnt(6)
	v_mul_f64 v[32:33], v[24:25], v[90:91]
	v_mul_f64 v[34:35], v[22:23], v[90:91]
	s_clause 0x1
	scratch_store_b128 off, v[92:95], off offset:32
	scratch_store_b128 off, v[88:91], off offset:16
	s_waitcnt vmcnt(5) lgkmcnt(5)
	v_mul_f64 v[60:61], v[28:29], v[98:99]
	v_mul_f64 v[62:63], v[26:27], v[98:99]
	s_waitcnt vmcnt(4) lgkmcnt(4)
	v_mul_f64 v[64:65], v[42:43], v[102:103]
	v_mul_f64 v[66:67], v[40:41], v[102:103]
	;; [unrolled: 3-line block ×6, first 2 shown]
	v_fma_f64 v[0:1], v[18:19], v[92:93], -v[0:1]
	v_fma_f64 v[30:31], v[20:21], v[92:93], v[30:31]
	v_fma_f64 v[32:33], v[22:23], v[88:89], -v[32:33]
	v_fma_f64 v[34:35], v[24:25], v[88:89], v[34:35]
	s_clause 0x5
	scratch_store_b128 off, v[96:99], off offset:80
	scratch_store_b128 off, v[100:103], off offset:96
	;; [unrolled: 1-line block ×6, first 2 shown]
	v_fma_f64 v[88:89], v[26:27], v[96:97], -v[60:61]
	v_fma_f64 v[90:91], v[28:29], v[96:97], v[62:63]
	v_fma_f64 v[92:93], v[40:41], v[100:101], -v[64:65]
	v_fma_f64 v[94:95], v[42:43], v[100:101], v[66:67]
	;; [unrolled: 2-line block ×6, first 2 shown]
	ds_load_b128 v[18:21], v236
	ds_load_b128 v[22:25], v236 offset:816
	ds_load_b128 v[26:29], v236 offset:1632
	;; [unrolled: 1-line block ×7, first 2 shown]
	s_waitcnt lgkmcnt(0)
	s_waitcnt_vscnt null, 0x0
	s_barrier
	buffer_gl0_inv
	v_add_f64 v[60:61], v[18:19], -v[0:1]
	v_add_f64 v[62:63], v[20:21], -v[30:31]
	;; [unrolled: 1-line block ×4, first 2 shown]
	v_mul_lo_u16 v0, v37, 34
	v_and_b32_e32 v1, 0xffff, v38
	v_and_b32_e32 v30, 0xffff, v110
	v_mad_u16 v31, v36, 34, v39
	v_and_b32_e32 v32, 0xffff, v111
	v_and_b32_e32 v0, 0xfe, v0
	v_mul_u32_u24_e32 v1, 34, v1
	v_mul_u32_u24_e32 v30, 34, v30
	v_mad_u16 v33, v112, 34, v116
	v_add_f64 v[68:69], v[26:27], -v[88:89]
	v_add_f64 v[70:71], v[28:29], -v[90:91]
	;; [unrolled: 1-line block ×12, first 2 shown]
	v_mad_u16 v34, v113, 34, v118
	v_mad_u16 v35, v114, 34, v119
	v_and_b32_e32 v31, 0xff, v31
	v_mul_u32_u24_e32 v32, 34, v32
	v_add_lshl_u32 v38, v0, v108, 4
	v_add_lshl_u32 v37, v1, v109, 4
	;; [unrolled: 1-line block ×3, first 2 shown]
	v_and_b32_e32 v0, 0xffff, v33
	v_and_b32_e32 v1, 0xffff, v34
	;; [unrolled: 1-line block ×3, first 2 shown]
	v_lshlrev_b32_e32 v39, 4, v31
	v_add_lshl_u32 v32, v32, v117, 4
	v_lshlrev_b32_e32 v31, 4, v0
	v_fma_f64 v[18:19], v[18:19], 2.0, -v[60:61]
	v_fma_f64 v[20:21], v[20:21], 2.0, -v[62:63]
	;; [unrolled: 1-line block ×4, first 2 shown]
	v_lshlrev_b32_e32 v1, 4, v1
	v_lshlrev_b32_e32 v0, 4, v30
	scratch_store_b32 off, v39, off offset:172 ; 4-byte Folded Spill
	v_fma_f64 v[26:27], v[26:27], 2.0, -v[68:69]
	v_fma_f64 v[28:29], v[28:29], 2.0, -v[70:71]
	;; [unrolled: 1-line block ×12, first 2 shown]
	ds_store_b128 v39, v[18:21]
	ds_store_b128 v39, v[60:63] offset:272
	ds_store_b128 v38, v[22:25]
	scratch_store_b32 off, v38, off offset:168 ; 4-byte Folded Spill
	ds_store_b128 v38, v[64:67] offset:272
	ds_store_b128 v37, v[26:29]
	scratch_store_b32 off, v37, off offset:164 ; 4-byte Folded Spill
	;; [unrolled: 3-line block ×7, first 2 shown]
	ds_store_b128 v0, v[84:87] offset:272
	s_waitcnt lgkmcnt(0)
	s_waitcnt_vscnt null, 0x0
	s_barrier
	buffer_gl0_inv
	ds_load_b128 v[92:95], v236
	ds_load_b128 v[88:91], v236 offset:816
	ds_load_b128 v[120:123], v236 offset:8704
	;; [unrolled: 1-line block ×14, first 2 shown]
	s_and_saveexec_b32 s1, s0
	s_cbranch_execz .LBB0_9
; %bb.8:
	ds_load_b128 v[84:87], v236 offset:4080
	ds_load_b128 v[80:83], v236 offset:8432
	;; [unrolled: 1-line block ×3, first 2 shown]
.LBB0_9:
	s_or_b32 exec_lo, exec_lo, s1
	v_add_co_u32 v0, s1, 0xffffffde, v248
	s_delay_alu instid0(VALU_DEP_1)
	v_add_co_ci_u32_e64 v1, null, 0, -1, s1
	v_cmp_gt_u16_e64 s1, 34, v248
	v_lshrrev_b16 v35, 13, v6
	v_lshrrev_b16 v36, 13, v8
	;; [unrolled: 1-line block ×3, first 2 shown]
	v_lshrrev_b32_e32 v7, 21, v7
	v_cndmask_b32_e64 v1, v1, 0, s1
	v_cndmask_b32_e64 v0, v0, v248, s1
	v_mul_lo_u16 v6, v36, 34
	v_lshrrev_b16 v38, 13, v5
	s_mov_b32 s8, 0xe8584caa
	s_mov_b32 s9, 0x3febb67a
	v_lshlrev_b64 v[18:19], 5, v[0:1]
	v_mul_lo_u16 v1, v35, 34
	s_mov_b32 s11, 0xbfebb67a
	s_mov_b32 s10, s8
	s_delay_alu instid0(VALU_DEP_1) | instskip(SKIP_3) | instid1(VALU_DEP_4)
	v_sub_nc_u16 v1, v2, v1
	v_sub_nc_u16 v2, v3, v6
	v_mul_lo_u16 v3, v37, 34
	v_add_co_u32 v18, s1, s2, v18
	v_and_b32_e32 v39, 0xff, v1
	v_mul_lo_u16 v1, v7, 34
	v_and_b32_e32 v40, 0xff, v2
	v_sub_nc_u16 v2, v4, v3
	v_mul_lo_u16 v3, v38, 34
	v_add_co_ci_u32_e64 v19, s1, s3, v19, s1
	v_sub_nc_u16 v41, v10, v1
	s_delay_alu instid0(VALU_DEP_4) | instskip(NEXT) | instid1(VALU_DEP_4)
	v_and_b32_e32 v42, 0xff, v2
	v_sub_nc_u16 v1, v9, v3
	v_lshlrev_b32_e32 v4, 5, v39
	v_lshlrev_b32_e32 v5, 5, v40
	v_lshlrev_b16 v2, 5, v41
	v_lshlrev_b32_e32 v3, 5, v42
	v_and_b32_e32 v43, 0xff, v1
	s_clause 0x3
	global_load_b128 v[52:55], v[18:19], off offset:288
	global_load_b128 v[56:59], v[18:19], off offset:272
	global_load_b128 v[60:63], v4, s[2:3] offset:288
	global_load_b128 v[72:75], v4, s[2:3] offset:272
	v_and_b32_e32 v1, 0xffff, v2
	s_clause 0x3
	global_load_b128 v[68:71], v5, s[2:3] offset:288
	global_load_b128 v[182:185], v5, s[2:3] offset:272
	;; [unrolled: 1-line block ×4, first 2 shown]
	v_lshlrev_b32_e32 v3, 5, v43
	v_add_co_u32 v1, s1, s2, v1
	s_delay_alu instid0(VALU_DEP_1)
	v_add_co_ci_u32_e64 v2, null, s3, 0, s1
	s_clause 0x3
	global_load_b128 v[178:181], v3, s[2:3] offset:272
	global_load_b128 v[174:177], v3, s[2:3] offset:288
	global_load_b128 v[48:51], v[1:2], off offset:272
	global_load_b128 v[44:47], v[1:2], off offset:288
	v_cmp_lt_u16_e64 s1, 33, v248
	s_waitcnt vmcnt(11) lgkmcnt(12)
	v_mul_f64 v[3:4], v[122:123], v[54:55]
	s_waitcnt vmcnt(10) lgkmcnt(4)
	v_mul_f64 v[1:2], v[146:147], v[58:59]
	v_mul_f64 v[5:6], v[144:145], v[58:59]
	;; [unrolled: 1-line block ×3, first 2 shown]
	s_waitcnt vmcnt(9)
	v_mul_f64 v[19:20], v[110:111], v[62:63]
	s_waitcnt vmcnt(8)
	v_mul_f64 v[21:22], v[124:125], v[74:75]
	v_mul_f64 v[23:24], v[108:109], v[62:63]
	s_waitcnt vmcnt(6)
	v_mul_f64 v[25:26], v[114:115], v[184:185]
	s_waitcnt vmcnt(4) lgkmcnt(2)
	v_mul_f64 v[154:155], v[140:141], v[78:79]
	v_mul_f64 v[156:157], v[116:117], v[66:67]
	;; [unrolled: 1-line block ×4, first 2 shown]
	s_waitcnt vmcnt(1) lgkmcnt(1)
	v_mul_f64 v[166:167], v[82:83], v[50:51]
	s_waitcnt vmcnt(0) lgkmcnt(0)
	v_mul_f64 v[168:169], v[150:151], v[46:47]
	v_mul_f64 v[170:171], v[80:81], v[50:51]
	v_mul_f64 v[172:173], v[148:149], v[46:47]
	v_mul_f64 v[29:30], v[112:113], v[184:185]
	v_mul_f64 v[31:32], v[136:137], v[70:71]
	v_mul_f64 v[33:34], v[142:143], v[78:79]
	v_mul_f64 v[152:153], v[118:119], v[66:67]
	v_mul_f64 v[158:159], v[130:131], v[180:181]
	v_mul_f64 v[160:161], v[134:135], v[176:177]
	v_mul_f64 v[162:163], v[128:129], v[180:181]
	v_mul_f64 v[164:165], v[132:133], v[176:177]
	s_clause 0xa
	scratch_store_b128 off, v[178:181], off offset:320
	scratch_store_b128 off, v[174:177], off offset:304
	;; [unrolled: 1-line block ×11, first 2 shown]
	v_fma_f64 v[120:121], v[120:121], v[52:53], -v[3:4]
	v_fma_f64 v[144:145], v[144:145], v[56:57], -v[1:2]
	v_fma_f64 v[146:147], v[146:147], v[56:57], v[5:6]
	v_fma_f64 v[122:123], v[122:123], v[52:53], v[7:8]
	v_fma_f64 v[108:109], v[108:109], v[60:61], -v[19:20]
	v_fma_f64 v[19:20], v[126:127], v[72:73], v[21:22]
	v_fma_f64 v[23:24], v[110:111], v[60:61], v[23:24]
	v_fma_f64 v[21:22], v[112:113], v[182:183], -v[25:26]
	v_fma_f64 v[110:111], v[142:143], v[76:77], v[154:155]
	v_fma_f64 v[112:113], v[118:119], v[64:65], v[156:157]
	v_fma_f64 v[17:18], v[124:125], v[72:73], -v[17:18]
	v_fma_f64 v[25:26], v[136:137], v[68:69], -v[27:28]
	;; [unrolled: 1-line block ×4, first 2 shown]
	v_fma_f64 v[7:8], v[82:83], v[48:49], v[170:171]
	v_fma_f64 v[5:6], v[150:151], v[44:45], v[172:173]
	;; [unrolled: 1-line block ×4, first 2 shown]
	v_fma_f64 v[31:32], v[140:141], v[76:77], -v[33:34]
	v_fma_f64 v[33:34], v[116:117], v[64:65], -v[152:153]
	;; [unrolled: 1-line block ×4, first 2 shown]
	v_fma_f64 v[118:119], v[130:131], v[178:179], v[162:163]
	v_fma_f64 v[124:125], v[134:135], v[174:175], v[164:165]
	v_add_f64 v[80:81], v[144:145], v[120:121]
	v_add_f64 v[150:151], v[92:93], v[144:145]
	;; [unrolled: 1-line block ×3, first 2 shown]
	v_add_f64 v[152:153], v[146:147], -v[122:123]
	v_add_f64 v[146:147], v[94:95], v[146:147]
	v_add_f64 v[128:129], v[19:20], v[23:24]
	v_add_f64 v[144:145], v[144:145], -v[120:121]
	v_add_f64 v[164:165], v[98:99], v[110:111]
	v_add_f64 v[136:137], v[110:111], v[112:113]
	v_add_f64 v[126:127], v[17:18], v[108:109]
	v_add_f64 v[130:131], v[21:22], v[25:26]
	v_add_f64 v[174:175], v[19:20], -v[23:24]
	v_add_f64 v[142:143], v[3:4], v[1:2]
	v_add_f64 v[190:191], v[3:4], -v[1:2]
	v_add_f64 v[148:149], v[7:8], v[5:6]
	v_add_f64 v[160:161], v[106:107], v[27:28]
	;; [unrolled: 1-line block ×5, first 2 shown]
	v_add_f64 v[31:32], v[31:32], -v[33:34]
	v_add_f64 v[138:139], v[114:115], v[116:117]
	v_add_f64 v[188:189], v[7:8], -v[5:6]
	v_add_f64 v[140:141], v[118:119], v[124:125]
	v_add_f64 v[176:177], v[17:18], -v[108:109]
	v_add_f64 v[178:179], v[27:28], -v[29:30]
	v_add_f64 v[180:181], v[21:22], -v[25:26]
	v_add_f64 v[154:155], v[88:89], v[17:18]
	v_add_f64 v[156:157], v[90:91], v[19:20]
	;; [unrolled: 1-line block ×4, first 2 shown]
	v_add_f64 v[182:183], v[110:111], -v[112:113]
	v_add_f64 v[184:185], v[118:119], -v[124:125]
	;; [unrolled: 1-line block ×3, first 2 shown]
	v_add_f64 v[168:169], v[102:103], v[118:119]
	v_fma_f64 v[170:171], v[80:81], -0.5, v[92:93]
	v_add_f64 v[17:18], v[150:151], v[120:121]
	v_fma_f64 v[172:173], v[82:83], -0.5, v[94:95]
	v_add_f64 v[19:20], v[146:147], v[122:123]
	v_fma_f64 v[128:129], v[128:129], -0.5, v[90:91]
	v_add_f64 v[82:83], v[164:165], v[112:113]
	v_fma_f64 v[136:137], v[136:137], -0.5, v[98:99]
	v_fma_f64 v[126:127], v[126:127], -0.5, v[88:89]
	v_fma_f64 v[130:131], v[130:131], -0.5, v[104:105]
	;; [unrolled: 1-line block ×4, first 2 shown]
	v_add_f64 v[27:28], v[160:161], v[29:30]
	v_fma_f64 v[132:133], v[132:133], -0.5, v[106:107]
	v_add_f64 v[80:81], v[162:163], v[33:34]
	v_fma_f64 v[134:135], v[134:135], -0.5, v[96:97]
	v_cndmask_b32_e64 v33, 0, 0x66, s1
	v_fma_f64 v[138:139], v[138:139], -0.5, v[100:101]
	v_fma_f64 v[140:141], v[140:141], -0.5, v[102:103]
	s_delay_alu instid0(VALU_DEP_3)
	v_add_lshl_u32 v34, v0, v33, 4
	v_add_f64 v[21:22], v[154:155], v[108:109]
	v_add_f64 v[23:24], v[156:157], v[23:24]
	;; [unrolled: 1-line block ×5, first 2 shown]
	v_fma_f64 v[96:97], v[152:153], s[10:11], v[170:171]
	v_fma_f64 v[92:93], v[152:153], s[8:9], v[170:171]
	;; [unrolled: 1-line block ×24, first 2 shown]
	s_clause 0x1
	scratch_store_b128 off, v[52:55], off offset:188
	scratch_store_b128 off, v[29:32], off
	v_and_b32_e32 v29, 0xffff, v35
	v_and_b32_e32 v30, 0xffff, v36
	;; [unrolled: 1-line block ×4, first 2 shown]
	s_waitcnt_vscnt null, 0x0
	v_mul_u32_u24_e32 v29, 0x66, v29
	v_mul_u32_u24_e32 v30, 0x66, v30
	;; [unrolled: 1-line block ×4, first 2 shown]
	s_barrier
	v_add_lshl_u32 v33, v29, v39, 4
	v_add_lshl_u32 v0, v30, v40, 4
	v_add_lshl_u32 v30, v31, v42, 4
	v_add_lshl_u32 v29, v32, v43, 4
	buffer_gl0_inv
	ds_store_b128 v34, v[17:20]
	ds_store_b128 v34, v[92:95] offset:544
	scratch_store_b32 off, v34, off offset:372 ; 4-byte Folded Spill
	ds_store_b128 v34, v[96:99] offset:1088
	ds_store_b128 v33, v[21:24]
	ds_store_b128 v33, v[100:103] offset:544
	scratch_store_b32 off, v33, off offset:368 ; 4-byte Folded Spill
	ds_store_b128 v33, v[104:107] offset:1088
	;; [unrolled: 4-line block ×3, first 2 shown]
	ds_store_b128 v30, v[80:83]
	ds_store_b128 v30, v[116:119] offset:544
	v_and_b32_e32 v0, 0xffff, v41
	s_clause 0x1
	scratch_store_b32 off, v0, off offset:352
	scratch_store_b32 off, v30, off offset:360
	ds_store_b128 v30, v[120:123] offset:1088
	ds_store_b128 v29, v[88:91]
	ds_store_b128 v29, v[124:127] offset:544
	scratch_store_b32 off, v29, off offset:356 ; 4-byte Folded Spill
	ds_store_b128 v29, v[128:131] offset:1088
	s_and_saveexec_b32 s1, s0
	s_cbranch_execz .LBB0_11
; %bb.10:
	scratch_load_b32 v0, off, off offset:352 ; 4-byte Folded Reload
	v_add_f64 v[7:8], v[86:87], v[7:8]
	v_add_f64 v[17:18], v[84:85], v[3:4]
	s_delay_alu instid0(VALU_DEP_2) | instskip(NEXT) | instid1(VALU_DEP_2)
	v_add_f64 v[3:4], v[7:8], v[5:6]
	v_add_f64 v[1:2], v[17:18], v[1:2]
	s_waitcnt vmcnt(0)
	v_lshlrev_b32_e32 v0, 4, v0
	ds_store_b128 v0, v[1:4] offset:11424
	ds_store_b128 v0, v[56:59] offset:11968
	scratch_load_b128 v[1:4], off, off      ; 16-byte Folded Reload
	s_waitcnt vmcnt(0)
	ds_store_b128 v0, v[1:4] offset:12512
.LBB0_11:
	s_or_b32 exec_lo, exec_lo, s1
	v_mul_lo_u16 v0, 0xa1, v16
	v_mul_u32_u24_e32 v1, 0xa0a1, v15
	v_mul_u32_u24_e32 v2, 0xa0a1, v14
	;; [unrolled: 1-line block ×3, first 2 shown]
	s_waitcnt lgkmcnt(0)
	s_waitcnt_vscnt null, 0x0
	v_lshrrev_b16 v0, 14, v0
	v_lshrrev_b32_e32 v1, 22, v1
	v_lshrrev_b32_e32 v2, 22, v2
	;; [unrolled: 1-line block ×3, first 2 shown]
	s_barrier
	v_mul_lo_u16 v0, 0x66, v0
	v_mul_lo_u16 v1, 0x66, v1
	;; [unrolled: 1-line block ×4, first 2 shown]
	buffer_gl0_inv
	v_sub_nc_u16 v0, v9, v0
	v_sub_nc_u16 v1, v10, v1
	v_sub_nc_u16 v2, v11, v2
	v_sub_nc_u16 v3, v12, v3
	s_clause 0x1
	global_load_b128 v[88:91], v255, s[2:3] offset:1360
	global_load_b128 v[84:87], v255, s[2:3] offset:2176
	v_and_b32_e32 v0, 0xff, v0
	v_and_b32_e32 v1, 0xffff, v1
	;; [unrolled: 1-line block ×3, first 2 shown]
	s_delay_alu instid0(VALU_DEP_3) | instskip(SKIP_1) | instid1(VALU_DEP_4)
	v_lshlrev_b32_e32 v39, 4, v0
	v_and_b32_e32 v0, 0xffff, v3
	v_lshlrev_b32_e32 v38, 4, v1
	s_delay_alu instid0(VALU_DEP_4)
	v_lshlrev_b32_e32 v37, 4, v2
	global_load_b128 v[48:51], v39, s[2:3] offset:1360
	v_lshlrev_b32_e32 v36, 4, v0
	s_clause 0x2
	global_load_b128 v[52:55], v38, s[2:3] offset:1360
	global_load_b128 v[44:47], v37, s[2:3] offset:1360
	;; [unrolled: 1-line block ×3, first 2 shown]
	ds_load_b128 v[0:3], v236 offset:6528
	ds_load_b128 v[4:7], v236 offset:7344
	;; [unrolled: 1-line block ×8, first 2 shown]
	s_waitcnt vmcnt(5) lgkmcnt(7)
	v_mul_f64 v[34:35], v[0:1], v[90:91]
	s_waitcnt vmcnt(4) lgkmcnt(6)
	v_mul_f64 v[80:81], v[6:7], v[86:87]
	v_mul_f64 v[82:83], v[4:5], v[86:87]
	s_waitcnt lgkmcnt(5)
	v_mul_f64 v[108:109], v[10:11], v[90:91]
	v_mul_f64 v[110:111], v[8:9], v[90:91]
	s_waitcnt lgkmcnt(4)
	v_mul_f64 v[112:113], v[14:15], v[86:87]
	v_mul_f64 v[114:115], v[12:13], v[86:87]
	;; [unrolled: 1-line block ×3, first 2 shown]
	s_waitcnt vmcnt(3) lgkmcnt(3)
	v_mul_f64 v[116:117], v[18:19], v[50:51]
	v_mul_f64 v[118:119], v[16:17], v[50:51]
	s_waitcnt vmcnt(2) lgkmcnt(2)
	v_mul_f64 v[120:121], v[22:23], v[54:55]
	v_mul_f64 v[122:123], v[20:21], v[54:55]
	;; [unrolled: 3-line block ×4, first 2 shown]
	s_clause 0x3
	scratch_store_b128 off, v[48:51], off offset:408
	scratch_store_b128 off, v[52:55], off offset:424
	;; [unrolled: 1-line block ×4, first 2 shown]
	v_fma_f64 v[34:35], v[2:3], v[88:89], v[34:35]
	v_fma_f64 v[132:133], v[4:5], v[84:85], -v[80:81]
	v_fma_f64 v[134:135], v[6:7], v[84:85], v[82:83]
	v_fma_f64 v[136:137], v[8:9], v[88:89], -v[108:109]
	;; [unrolled: 2-line block ×4, first 2 shown]
	v_fma_f64 v[144:145], v[16:17], v[48:49], -v[116:117]
	v_fma_f64 v[146:147], v[18:19], v[48:49], v[118:119]
	v_fma_f64 v[148:149], v[20:21], v[52:53], -v[120:121]
	v_fma_f64 v[150:151], v[22:23], v[52:53], v[122:123]
	;; [unrolled: 2-line block ×4, first 2 shown]
	ds_load_b128 v[0:3], v236
	ds_load_b128 v[4:7], v236 offset:816
	ds_load_b128 v[8:11], v236 offset:1632
	;; [unrolled: 1-line block ×7, first 2 shown]
	s_waitcnt lgkmcnt(0)
	s_waitcnt_vscnt null, 0x0
	s_barrier
	buffer_gl0_inv
	v_add_f64 v[82:83], v[2:3], -v[34:35]
	v_add_f64 v[108:109], v[4:5], -v[132:133]
	;; [unrolled: 1-line block ×16, first 2 shown]
	v_fma_f64 v[138:139], v[2:3], 2.0, -v[82:83]
	v_fma_f64 v[2:3], v[4:5], 2.0, -v[108:109]
	v_fma_f64 v[4:5], v[6:7], 2.0, -v[110:111]
	v_fma_f64 v[6:7], v[8:9], 2.0, -v[112:113]
	v_fma_f64 v[8:9], v[10:11], 2.0, -v[114:115]
	v_fma_f64 v[10:11], v[12:13], 2.0, -v[116:117]
	v_fma_f64 v[12:13], v[14:15], 2.0, -v[118:119]
	v_fma_f64 v[136:137], v[0:1], 2.0, -v[80:81]
	v_add_co_u32 v0, s1, s2, v255
	s_delay_alu instid0(VALU_DEP_1)
	v_add_co_ci_u32_e64 v1, null, s3, 0, s1
	v_fma_f64 v[14:15], v[16:17], 2.0, -v[120:121]
	v_fma_f64 v[16:17], v[18:19], 2.0, -v[122:123]
	;; [unrolled: 1-line block ×8, first 2 shown]
	v_add_co_u32 v30, s1, 0x1000, v0
	s_delay_alu instid0(VALU_DEP_1) | instskip(SKIP_1) | instid1(VALU_DEP_1)
	v_add_co_ci_u32_e64 v31, s1, 0, v1, s1
	v_add_co_u32 v0, s1, 0x2000, v0
	v_add_co_ci_u32_e64 v1, s1, 0, v1, s1
	ds_store_b128 v236, v[80:83] offset:1632
	ds_store_b128 v236, v[108:111] offset:2448
	;; [unrolled: 1-line block ×4, first 2 shown]
	ds_store_b128 v236, v[136:139]
	ds_store_b128 v236, v[2:5] offset:816
	ds_store_b128 v236, v[6:9] offset:3264
	;; [unrolled: 1-line block ×4, first 2 shown]
	scratch_store_b32 off, v39, off offset:220 ; 4-byte Folded Spill
	ds_store_b128 v39, v[120:123] offset:8160
	ds_store_b128 v38, v[18:21] offset:6528
	scratch_store_b32 off, v38, off offset:184 ; 4-byte Folded Spill
	ds_store_b128 v38, v[124:127] offset:8160
	ds_store_b128 v37, v[22:25] offset:9792
	;; [unrolled: 3-line block ×3, first 2 shown]
	scratch_store_b32 off, v36, off offset:176 ; 4-byte Folded Spill
	ds_store_b128 v36, v[132:135] offset:11424
	s_waitcnt lgkmcnt(0)
	s_waitcnt_vscnt null, 0x0
	s_barrier
	buffer_gl0_inv
	s_clause 0x3
	global_load_b128 v[112:115], v255, s[2:3] offset:2992
	global_load_b128 v[108:111], v255, s[2:3] offset:3808
	global_load_b128 v[116:119], v[30:31], off offset:528
	global_load_b128 v[120:123], v[30:31], off offset:1344
	ds_load_b128 v[2:5], v236 offset:6528
	ds_load_b128 v[6:9], v236 offset:7344
	;; [unrolled: 1-line block ×8, first 2 shown]
	s_waitcnt vmcnt(3) lgkmcnt(7)
	v_mul_f64 v[32:33], v[4:5], v[114:115]
	v_mul_f64 v[34:35], v[2:3], v[114:115]
	s_waitcnt vmcnt(2) lgkmcnt(6)
	v_mul_f64 v[124:125], v[8:9], v[110:111]
	v_mul_f64 v[126:127], v[6:7], v[110:111]
	;; [unrolled: 3-line block ×4, first 2 shown]
	s_waitcnt lgkmcnt(3)
	v_mul_f64 v[136:137], v[20:21], v[114:115]
	v_mul_f64 v[138:139], v[18:19], v[114:115]
	s_waitcnt lgkmcnt(2)
	v_mul_f64 v[140:141], v[24:25], v[110:111]
	v_mul_f64 v[142:143], v[22:23], v[110:111]
	;; [unrolled: 3-line block ×4, first 2 shown]
	v_fma_f64 v[32:33], v[2:3], v[112:113], -v[32:33]
	v_fma_f64 v[34:35], v[4:5], v[112:113], v[34:35]
	v_fma_f64 v[152:153], v[6:7], v[108:109], -v[124:125]
	v_fma_f64 v[154:155], v[8:9], v[108:109], v[126:127]
	;; [unrolled: 2-line block ×8, first 2 shown]
	ds_load_b128 v[2:5], v236
	ds_load_b128 v[6:9], v236 offset:816
	ds_load_b128 v[10:13], v236 offset:1632
	;; [unrolled: 1-line block ×7, first 2 shown]
	s_waitcnt lgkmcnt(0)
	s_barrier
	buffer_gl0_inv
	v_add_f64 v[124:125], v[2:3], -v[32:33]
	v_add_f64 v[126:127], v[4:5], -v[34:35]
	;; [unrolled: 1-line block ×16, first 2 shown]
	v_fma_f64 v[2:3], v[2:3], 2.0, -v[124:125]
	v_fma_f64 v[4:5], v[4:5], 2.0, -v[126:127]
	;; [unrolled: 1-line block ×16, first 2 shown]
	ds_store_b128 v236, v[124:127] offset:3264
	ds_store_b128 v236, v[128:131] offset:4080
	;; [unrolled: 1-line block ×8, first 2 shown]
	ds_store_b128 v236, v[2:5]
	ds_store_b128 v236, v[6:9] offset:816
	ds_store_b128 v236, v[10:13] offset:1632
	;; [unrolled: 1-line block ×7, first 2 shown]
	s_waitcnt lgkmcnt(0)
	s_barrier
	buffer_gl0_inv
	s_clause 0x7
	global_load_b128 v[138:141], v[30:31], off offset:2160
	global_load_b128 v[146:149], v[30:31], off offset:2976
	global_load_b128 v[142:145], v[30:31], off offset:3792
	global_load_b128 v[150:153], v[0:1], off offset:512
	global_load_b128 v[36:39], v[0:1], off offset:1328
	global_load_b128 v[40:43], v[0:1], off offset:2144
	global_load_b128 v[44:47], v[0:1], off offset:2960
	global_load_b128 v[48:51], v[0:1], off offset:3776
	ds_load_b128 v[0:3], v236 offset:6528
	ds_load_b128 v[4:7], v236 offset:7344
	;; [unrolled: 1-line block ×8, first 2 shown]
	s_waitcnt vmcnt(6) lgkmcnt(6)
	v_mul_f64 v[80:81], v[6:7], v[148:149]
	v_mul_f64 v[82:83], v[4:5], v[148:149]
	s_waitcnt vmcnt(5) lgkmcnt(5)
	v_mul_f64 v[160:161], v[10:11], v[144:145]
	v_mul_f64 v[162:163], v[8:9], v[144:145]
	;; [unrolled: 3-line block ×3, first 2 shown]
	v_mul_f64 v[34:35], v[0:1], v[140:141]
	v_mul_f64 v[166:167], v[12:13], v[152:153]
	s_waitcnt vmcnt(3) lgkmcnt(3)
	v_mul_f64 v[168:169], v[18:19], v[38:39]
	v_mul_f64 v[170:171], v[16:17], v[38:39]
	s_waitcnt vmcnt(2) lgkmcnt(2)
	;; [unrolled: 3-line block ×4, first 2 shown]
	v_mul_f64 v[180:181], v[30:31], v[50:51]
	v_mul_f64 v[182:183], v[28:29], v[50:51]
	s_clause 0x3
	scratch_store_b128 off, v[36:39], off offset:440
	scratch_store_b128 off, v[40:43], off offset:456
	;; [unrolled: 1-line block ×4, first 2 shown]
	v_fma_f64 v[80:81], v[4:5], v[146:147], -v[80:81]
	v_fma_f64 v[82:83], v[6:7], v[146:147], v[82:83]
	v_fma_f64 v[160:161], v[8:9], v[142:143], -v[160:161]
	v_fma_f64 v[162:163], v[10:11], v[142:143], v[162:163]
	v_fma_f64 v[164:165], v[12:13], v[150:151], -v[164:165]
	v_fma_f64 v[32:33], v[0:1], v[138:139], -v[32:33]
	v_fma_f64 v[34:35], v[2:3], v[138:139], v[34:35]
	v_fma_f64 v[166:167], v[14:15], v[150:151], v[166:167]
	v_fma_f64 v[168:169], v[16:17], v[36:37], -v[168:169]
	v_fma_f64 v[170:171], v[18:19], v[36:37], v[170:171]
	v_fma_f64 v[172:173], v[20:21], v[40:41], -v[172:173]
	v_fma_f64 v[174:175], v[22:23], v[40:41], v[174:175]
	v_fma_f64 v[176:177], v[24:25], v[44:45], -v[176:177]
	v_fma_f64 v[178:179], v[26:27], v[44:45], v[178:179]
	v_fma_f64 v[180:181], v[28:29], v[48:49], -v[180:181]
	v_fma_f64 v[182:183], v[30:31], v[48:49], v[182:183]
	ds_load_b128 v[0:3], v236
	ds_load_b128 v[4:7], v236 offset:816
	ds_load_b128 v[8:11], v236 offset:1632
	;; [unrolled: 1-line block ×7, first 2 shown]
	s_waitcnt lgkmcnt(6)
	v_add_f64 v[212:213], v[4:5], -v[80:81]
	v_add_f64 v[214:215], v[6:7], -v[82:83]
	s_waitcnt lgkmcnt(5)
	v_add_f64 v[204:205], v[8:9], -v[160:161]
	v_add_f64 v[206:207], v[10:11], -v[162:163]
	;; [unrolled: 3-line block ×3, first 2 shown]
	v_add_f64 v[218:219], v[2:3], -v[34:35]
	v_add_f64 v[198:199], v[14:15], -v[166:167]
	s_waitcnt lgkmcnt(3)
	v_add_f64 v[188:189], v[16:17], -v[168:169]
	v_add_f64 v[190:191], v[18:19], -v[170:171]
	s_waitcnt lgkmcnt(2)
	;; [unrolled: 3-line block ×4, first 2 shown]
	v_add_f64 v[168:169], v[28:29], -v[180:181]
	v_add_f64 v[170:171], v[30:31], -v[182:183]
	v_fma_f64 v[224:225], v[4:5], 2.0, -v[212:213]
	v_fma_f64 v[226:227], v[6:7], 2.0, -v[214:215]
	;; [unrolled: 1-line block ×16, first 2 shown]
	ds_store_b128 v236, v[216:219] offset:6528
	ds_store_b128 v236, v[212:215] offset:7344
	;; [unrolled: 1-line block ×8, first 2 shown]
	ds_store_b128 v236, v[160:163]
	ds_store_b128 v236, v[224:227] offset:816
	ds_store_b128 v236, v[220:223] offset:1632
	;; [unrolled: 1-line block ×7, first 2 shown]
	s_waitcnt lgkmcnt(0)
	s_waitcnt_vscnt null, 0x0
	s_barrier
	buffer_gl0_inv
	s_and_saveexec_b32 s8, vcc_lo
	s_cbranch_execz .LBB0_13
; %bb.12:
	s_add_u32 s2, s12, 0x3300
	s_addc_u32 s3, s13, 0
	v_add_co_u32 v36, s1, s2, v255
	s_clause 0x5
	global_load_b128 v[0:3], v255, s[2:3]
	global_load_b128 v[4:7], v255, s[2:3] offset:768
	global_load_b128 v[8:11], v255, s[2:3] offset:1536
	;; [unrolled: 1-line block ×5, first 2 shown]
	v_add_co_ci_u32_e64 v37, null, s3, 0, s1
	v_add_co_u32 v32, s1, 0x1000, v36
	ds_load_b128 v[16:19], v236
	v_add_co_ci_u32_e64 v33, s1, 0, v37, s1
	v_or_b32_e32 v24, 0x1800, v255
	v_add_co_u32 v245, s1, 0x2000, v36
	s_clause 0x2
	global_load_b128 v[12:15], v[32:33], off offset:512
	global_load_b128 v[20:23], v[32:33], off offset:1280
	global_load_b128 v[24:27], v24, s[2:3]
	v_add_co_ci_u32_e64 v246, s1, 0, v37, s1
	v_or_b32_e32 v36, 0x2400, v255
	v_mov_b32_e32 v37, v248
	s_waitcnt vmcnt(8) lgkmcnt(0)
	v_mul_f64 v[28:29], v[18:19], v[2:3]
	v_mul_f64 v[2:3], v[16:17], v[2:3]
	s_delay_alu instid0(VALU_DEP_2) | instskip(NEXT) | instid1(VALU_DEP_2)
	v_fma_f64 v[16:17], v[16:17], v[0:1], -v[28:29]
	v_fma_f64 v[18:19], v[18:19], v[0:1], v[2:3]
	global_load_b128 v[0:3], v[32:33], off offset:2816
	ds_store_b128 v236, v[16:19]
	ds_load_b128 v[16:19], v255 offset:768
	ds_load_b128 v[28:31], v255 offset:1536
	global_load_b128 v[80:83], v[32:33], off offset:3584
	ds_load_b128 v[237:240], v255 offset:2304
	ds_load_b128 v[241:244], v255 offset:3072
	s_waitcnt vmcnt(9) lgkmcnt(3)
	v_mul_f64 v[32:33], v[18:19], v[6:7]
	v_mul_f64 v[6:7], v[16:17], v[6:7]
	s_waitcnt vmcnt(8) lgkmcnt(2)
	v_mul_f64 v[34:35], v[30:31], v[10:11]
	v_mul_f64 v[10:11], v[28:29], v[10:11]
	s_delay_alu instid0(VALU_DEP_4) | instskip(NEXT) | instid1(VALU_DEP_4)
	v_fma_f64 v[16:17], v[16:17], v[4:5], -v[32:33]
	v_fma_f64 v[18:19], v[18:19], v[4:5], v[6:7]
	global_load_b128 v[4:7], v[245:246], off offset:256
	s_waitcnt vmcnt(8) lgkmcnt(1)
	v_mul_f64 v[32:33], v[239:240], v[166:167]
	v_fma_f64 v[30:31], v[30:31], v[8:9], v[10:11]
	v_mul_f64 v[10:11], v[237:238], v[166:167]
	v_fma_f64 v[28:29], v[28:29], v[8:9], -v[34:35]
	s_waitcnt vmcnt(7) lgkmcnt(0)
	v_mul_f64 v[34:35], v[243:244], v[230:231]
	v_mul_f64 v[230:231], v[241:242], v[230:231]
	v_fma_f64 v[8:9], v[237:238], v[164:165], -v[32:33]
	v_fma_f64 v[10:11], v[239:240], v[164:165], v[10:11]
	global_load_b128 v[164:167], v36, s[2:3]
	ds_load_b128 v[237:240], v255 offset:3840
	v_fma_f64 v[241:242], v[241:242], v[228:229], -v[34:35]
	v_fma_f64 v[243:244], v[243:244], v[228:229], v[230:231]
	ds_load_b128 v[228:231], v255 offset:4608
	v_mov_b32_e32 v36, v247
	s_waitcnt vmcnt(7) lgkmcnt(1)
	v_mul_f64 v[32:33], v[239:240], v[234:235]
	v_mul_f64 v[34:35], v[237:238], v[234:235]
	s_waitcnt vmcnt(6) lgkmcnt(0)
	v_mul_f64 v[247:248], v[230:231], v[14:15]
	v_mul_f64 v[14:15], v[228:229], v[14:15]
	s_delay_alu instid0(VALU_DEP_4) | instskip(NEXT) | instid1(VALU_DEP_4)
	v_fma_f64 v[237:238], v[237:238], v[232:233], -v[32:33]
	v_fma_f64 v[239:240], v[239:240], v[232:233], v[34:35]
	ds_load_b128 v[232:235], v255 offset:5376
	v_fma_f64 v[228:229], v[228:229], v[12:13], -v[247:248]
	v_fma_f64 v[230:231], v[230:231], v[12:13], v[14:15]
	ds_load_b128 v[12:15], v255 offset:6144
	s_waitcnt vmcnt(5) lgkmcnt(1)
	v_mul_f64 v[32:33], v[234:235], v[22:23]
	v_mul_f64 v[22:23], v[232:233], v[22:23]
	s_waitcnt vmcnt(4) lgkmcnt(0)
	v_mul_f64 v[34:35], v[14:15], v[26:27]
	v_mul_f64 v[26:27], v[12:13], v[26:27]
	s_delay_alu instid0(VALU_DEP_4) | instskip(NEXT) | instid1(VALU_DEP_4)
	v_fma_f64 v[232:233], v[232:233], v[20:21], -v[32:33]
	v_fma_f64 v[234:235], v[234:235], v[20:21], v[22:23]
	ds_load_b128 v[20:23], v255 offset:6912
	v_fma_f64 v[12:13], v[12:13], v[24:25], -v[34:35]
	v_fma_f64 v[14:15], v[14:15], v[24:25], v[26:27]
	ds_load_b128 v[24:27], v255 offset:7680
	s_waitcnt vmcnt(3) lgkmcnt(1)
	v_mul_f64 v[32:33], v[22:23], v[2:3]
	v_mul_f64 v[2:3], v[20:21], v[2:3]
	s_delay_alu instid0(VALU_DEP_2) | instskip(SKIP_3) | instid1(VALU_DEP_4)
	v_fma_f64 v[20:21], v[20:21], v[0:1], -v[32:33]
	s_waitcnt vmcnt(2) lgkmcnt(0)
	v_mul_f64 v[34:35], v[26:27], v[82:83]
	v_mul_f64 v[32:33], v[24:25], v[82:83]
	v_fma_f64 v[22:23], v[22:23], v[0:1], v[2:3]
	ds_load_b128 v[0:3], v255 offset:8448
	v_fma_f64 v[24:25], v[24:25], v[80:81], -v[34:35]
	v_fma_f64 v[26:27], v[26:27], v[80:81], v[32:33]
	ds_load_b128 v[80:83], v255 offset:9216
	s_waitcnt vmcnt(1) lgkmcnt(1)
	v_mul_f64 v[32:33], v[2:3], v[6:7]
	v_mul_f64 v[6:7], v[0:1], v[6:7]
	s_delay_alu instid0(VALU_DEP_2) | instskip(NEXT) | instid1(VALU_DEP_2)
	v_fma_f64 v[0:1], v[0:1], v[4:5], -v[32:33]
	v_fma_f64 v[2:3], v[2:3], v[4:5], v[6:7]
	global_load_b128 v[4:7], v[245:246], off offset:3328
	s_waitcnt vmcnt(1) lgkmcnt(0)
	v_mul_f64 v[32:33], v[82:83], v[166:167]
	v_mul_f64 v[34:35], v[80:81], v[166:167]
	s_delay_alu instid0(VALU_DEP_2) | instskip(NEXT) | instid1(VALU_DEP_2)
	v_fma_f64 v[80:81], v[80:81], v[164:165], -v[32:33]
	v_fma_f64 v[82:83], v[82:83], v[164:165], v[34:35]
	s_clause 0x1
	global_load_b128 v[164:167], v[245:246], off offset:1792
	global_load_b128 v[245:248], v[245:246], off offset:2560
	ds_load_b128 v[249:252], v255 offset:9984
	ds_load_b128 v[32:35], v255 offset:10752
	s_waitcnt vmcnt(1) lgkmcnt(1)
	v_mul_f64 v[253:254], v[251:252], v[166:167]
	v_mul_f64 v[166:167], v[249:250], v[166:167]
	s_delay_alu instid0(VALU_DEP_2) | instskip(NEXT) | instid1(VALU_DEP_2)
	v_fma_f64 v[249:250], v[249:250], v[164:165], -v[253:254]
	v_fma_f64 v[251:252], v[251:252], v[164:165], v[166:167]
	s_waitcnt vmcnt(0) lgkmcnt(0)
	v_mul_f64 v[164:165], v[34:35], v[247:248]
	v_mul_f64 v[166:167], v[32:33], v[247:248]
	s_delay_alu instid0(VALU_DEP_2) | instskip(NEXT) | instid1(VALU_DEP_2)
	v_fma_f64 v[32:33], v[32:33], v[245:246], -v[164:165]
	v_fma_f64 v[34:35], v[34:35], v[245:246], v[166:167]
	ds_load_b128 v[164:167], v255 offset:11520
	ds_load_b128 v[245:248], v255 offset:12288
	s_waitcnt lgkmcnt(1)
	v_mul_f64 v[253:254], v[166:167], v[6:7]
	v_mul_f64 v[6:7], v[164:165], v[6:7]
	s_delay_alu instid0(VALU_DEP_2) | instskip(NEXT) | instid1(VALU_DEP_2)
	v_fma_f64 v[164:165], v[164:165], v[4:5], -v[253:254]
	v_fma_f64 v[166:167], v[166:167], v[4:5], v[6:7]
	v_or_b32_e32 v4, 0x3000, v255
	global_load_b128 v[4:7], v4, s[2:3]
	s_waitcnt vmcnt(0) lgkmcnt(0)
	v_mul_f64 v[253:254], v[247:248], v[6:7]
	v_mul_f64 v[6:7], v[245:246], v[6:7]
	s_delay_alu instid0(VALU_DEP_2) | instskip(NEXT) | instid1(VALU_DEP_2)
	v_fma_f64 v[245:246], v[245:246], v[4:5], -v[253:254]
	v_fma_f64 v[247:248], v[247:248], v[4:5], v[6:7]
	ds_store_b128 v255, v[16:19] offset:768
	ds_store_b128 v255, v[28:31] offset:1536
	ds_store_b128 v255, v[8:11] offset:2304
	ds_store_b128 v255, v[241:244] offset:3072
	ds_store_b128 v255, v[237:240] offset:3840
	ds_store_b128 v255, v[228:231] offset:4608
	ds_store_b128 v255, v[232:235] offset:5376
	ds_store_b128 v255, v[12:15] offset:6144
	ds_store_b128 v255, v[20:23] offset:6912
	ds_store_b128 v255, v[24:27] offset:7680
	ds_store_b128 v255, v[0:3] offset:8448
	ds_store_b128 v255, v[80:83] offset:9216
	ds_store_b128 v255, v[249:252] offset:9984
	ds_store_b128 v255, v[32:35] offset:10752
	ds_store_b128 v255, v[164:167] offset:11520
	ds_store_b128 v255, v[245:248] offset:12288
	v_dual_mov_b32 v248, v37 :: v_dual_mov_b32 v247, v36
.LBB0_13:
	s_or_b32 exec_lo, exec_lo, s8
	s_waitcnt lgkmcnt(0)
	s_barrier
	buffer_gl0_inv
	s_and_saveexec_b32 s1, vcc_lo
	s_cbranch_execz .LBB0_15
; %bb.14:
	ds_load_b128 v[160:163], v236
	ds_load_b128 v[216:219], v236 offset:768
	ds_load_b128 v[224:227], v236 offset:1536
	;; [unrolled: 1-line block ×16, first 2 shown]
.LBB0_15:
	s_or_b32 exec_lo, exec_lo, s1
	s_waitcnt lgkmcnt(0)
	v_add_f64 v[24:25], v[218:219], -v[58:59]
	s_mov_b32 s16, 0x5d8e7cdc
	s_mov_b32 s17, 0xbfd71e95
	v_add_f64 v[22:23], v[216:217], v[56:57]
	v_add_f64 v[154:155], v[226:227], -v[170:171]
	s_mov_b32 s2, 0x370991
	s_mov_b32 s18, 0x2a9d6da3
	;; [unrolled: 1-line block ×4, first 2 shown]
	v_add_f64 v[166:167], v[224:225], v[168:169]
	v_add_f64 v[26:27], v[218:219], v[58:59]
	s_mov_b32 s8, 0x75d4884
	s_mov_b32 s9, 0x3fe7a5f6
	v_add_f64 v[28:29], v[216:217], -v[56:57]
	v_add_f64 v[249:250], v[226:227], v[170:171]
	v_add_f64 v[164:165], v[214:215], -v[178:179]
	s_mov_b32 s30, 0x7c9e640b
	s_mov_b32 s31, 0xbfeca52d
	v_add_f64 v[44:45], v[212:213], v[176:177]
	s_mov_b32 s10, 0x2b2883cd
	s_mov_b32 s11, 0x3fdc86fa
	v_add_f64 v[253:254], v[214:215], v[178:179]
	v_add_f64 v[60:61], v[222:223], -v[174:175]
	s_mov_b32 s40, 0xeb564b22
	s_mov_b32 s41, 0xbfefdd0d
	v_add_f64 v[241:242], v[220:221], v[172:173]
	s_mov_b32 s20, 0x3259b75e
	s_mov_b32 s21, 0x3fb79ee6
	v_add_f64 v[62:63], v[206:207], -v[182:183]
	s_mov_b32 s42, 0x923c349f
	s_mov_b32 s43, 0xbfeec746
	v_add_f64 v[52:53], v[204:205], v[180:181]
	s_mov_b32 s22, 0xc61f0d01
	s_mov_b32 s23, 0xbfd183b1
	v_add_f64 v[245:246], v[206:207], v[182:183]
	v_add_f64 v[64:65], v[210:211], -v[186:187]
	v_add_f64 v[54:55], v[208:209], v[184:185]
	v_add_f64 v[70:71], v[198:199], -v[194:195]
	v_mul_f64 v[36:37], v[24:25], s[16:17]
	s_mov_b32 s24, 0x6ed5f1bb
	s_mov_b32 s38, 0x4363dd80
	;; [unrolled: 1-line block ×3, first 2 shown]
	v_mul_f64 v[74:75], v[154:155], s[18:19]
	s_mov_b32 s39, 0xbfe0d888
	v_add_f64 v[66:67], v[196:197], v[192:193]
	s_mov_b32 s26, 0x910ea3b9
	s_mov_b32 s27, 0xbfeb34fa
	v_add_f64 v[243:244], v[198:199], v[194:195]
	v_mul_f64 v[30:31], v[26:27], s[2:3]
	v_add_f64 v[72:73], v[202:203], -v[190:191]
	s_mov_b32 s36, 0xacd6c6b4
	s_mov_b32 s37, 0xbfc7851a
	v_mul_f64 v[76:77], v[249:250], s[8:9]
	v_mul_f64 v[78:79], v[164:165], s[30:31]
	v_add_f64 v[68:69], v[200:201], v[188:189]
	s_mov_b32 s28, 0x7faef3
	s_mov_b32 s29, 0xbfef7484
	s_barrier
	v_mul_f64 v[80:81], v[253:254], s[10:11]
	v_mul_f64 v[82:83], v[60:61], s[40:41]
	buffer_gl0_inv
	v_mul_f64 v[94:95], v[62:63], s[42:43]
	v_mul_f64 v[98:99], v[245:246], s[22:23]
	;; [unrolled: 1-line block ×4, first 2 shown]
	v_fma_f64 v[0:1], v[22:23], s[2:3], -v[36:37]
	v_fma_f64 v[2:3], v[166:167], s[8:9], -v[74:75]
	v_mul_f64 v[106:107], v[243:244], s[26:27]
	v_mul_f64 v[104:105], v[72:73], s[36:37]
	v_fma_f64 v[10:11], v[241:242], s[20:21], -v[82:83]
	v_fma_f64 v[20:21], v[66:67], s[26:27], -v[100:101]
	v_add_f64 v[0:1], v[160:161], v[0:1]
	s_delay_alu instid0(VALU_DEP_4) | instskip(NEXT) | instid1(VALU_DEP_2)
	v_fma_f64 v[34:35], v[68:69], s[28:29], -v[104:105]
	v_add_f64 v[0:1], v[2:3], v[0:1]
	v_fma_f64 v[2:3], v[28:29], s[16:17], v[30:31]
	s_delay_alu instid0(VALU_DEP_1) | instskip(SKIP_1) | instid1(VALU_DEP_1)
	v_add_f64 v[4:5], v[162:163], v[2:3]
	v_add_f64 v[2:3], v[224:225], -v[168:169]
	v_fma_f64 v[6:7], v[2:3], s[18:19], v[76:77]
	s_delay_alu instid0(VALU_DEP_1) | instskip(SKIP_1) | instid1(VALU_DEP_1)
	v_add_f64 v[4:5], v[6:7], v[4:5]
	v_fma_f64 v[6:7], v[44:45], s[10:11], -v[78:79]
	v_add_f64 v[0:1], v[6:7], v[0:1]
	v_add_f64 v[6:7], v[212:213], -v[176:177]
	s_delay_alu instid0(VALU_DEP_2) | instskip(NEXT) | instid1(VALU_DEP_2)
	v_add_f64 v[10:11], v[10:11], v[0:1]
	v_fma_f64 v[8:9], v[6:7], s[30:31], v[80:81]
	v_add_f64 v[0:1], v[220:221], -v[172:173]
	s_delay_alu instid0(VALU_DEP_2) | instskip(SKIP_1) | instid1(VALU_DEP_1)
	v_add_f64 v[8:9], v[8:9], v[4:5]
	v_add_f64 v[4:5], v[222:223], v[174:175]
	v_mul_f64 v[92:93], v[4:5], s[20:21]
	s_delay_alu instid0(VALU_DEP_1) | instskip(NEXT) | instid1(VALU_DEP_1)
	v_fma_f64 v[12:13], v[0:1], s[40:41], v[92:93]
	v_add_f64 v[8:9], v[12:13], v[8:9]
	v_fma_f64 v[12:13], v[52:53], s[22:23], -v[94:95]
	s_delay_alu instid0(VALU_DEP_1) | instskip(SKIP_1) | instid1(VALU_DEP_1)
	v_add_f64 v[12:13], v[12:13], v[10:11]
	v_add_f64 v[10:11], v[204:205], -v[180:181]
	v_fma_f64 v[14:15], v[10:11], s[42:43], v[98:99]
	s_delay_alu instid0(VALU_DEP_1) | instskip(SKIP_2) | instid1(VALU_DEP_2)
	v_add_f64 v[16:17], v[14:15], v[8:9]
	v_fma_f64 v[14:15], v[54:55], s[24:25], -v[96:97]
	v_add_f64 v[8:9], v[210:211], v[186:187]
	v_add_f64 v[18:19], v[14:15], v[12:13]
	v_add_f64 v[14:15], v[208:209], -v[184:185]
	s_delay_alu instid0(VALU_DEP_3) | instskip(NEXT) | instid1(VALU_DEP_3)
	v_mul_f64 v[102:103], v[8:9], s[24:25]
	v_add_f64 v[20:21], v[20:21], v[18:19]
	v_add_f64 v[18:19], v[196:197], -v[192:193]
	s_delay_alu instid0(VALU_DEP_3) | instskip(NEXT) | instid1(VALU_DEP_3)
	v_fma_f64 v[12:13], v[14:15], s[34:35], v[102:103]
	v_add_f64 v[228:229], v[34:35], v[20:21]
	s_delay_alu instid0(VALU_DEP_3) | instskip(NEXT) | instid1(VALU_DEP_3)
	v_fma_f64 v[32:33], v[18:19], s[38:39], v[106:107]
	v_add_f64 v[16:17], v[12:13], v[16:17]
	v_add_f64 v[20:21], v[200:201], -v[188:189]
	s_delay_alu instid0(VALU_DEP_2) | instskip(SKIP_1) | instid1(VALU_DEP_1)
	v_add_f64 v[32:33], v[32:33], v[16:17]
	v_add_f64 v[16:17], v[202:203], v[190:191]
	v_mul_f64 v[124:125], v[16:17], s[28:29]
	s_delay_alu instid0(VALU_DEP_1) | instskip(NEXT) | instid1(VALU_DEP_1)
	v_fma_f64 v[34:35], v[20:21], s[36:37], v[124:125]
	v_add_f64 v[230:231], v[34:35], v[32:33]
	s_and_saveexec_b32 s1, vcc_lo
	s_cbranch_execz .LBB0_17
; %bb.16:
	v_add_f64 v[32:33], v[162:163], v[218:219]
	v_add_f64 v[34:35], v[160:161], v[216:217]
	s_mov_b32 s51, 0x3fd71e95
	s_mov_b32 s50, s16
	;; [unrolled: 1-line block ×4, first 2 shown]
	v_dual_mov_b32 v49, v5 :: v_dual_mov_b32 v48, v4
	s_mov_b32 s45, 0x3feca52d
	s_mov_b32 s44, s30
	;; [unrolled: 1-line block ×5, first 2 shown]
	v_mul_f64 v[40:41], v[20:21], s[46:47]
	s_mov_b32 s52, s34
	s_mov_b32 s55, 0x3fe0d888
	;; [unrolled: 1-line block ×5, first 2 shown]
	v_mul_f64 v[251:252], v[10:11], s[48:49]
	v_mul_f64 v[12:13], v[2:3], s[36:37]
	;; [unrolled: 1-line block ×5, first 2 shown]
	v_dual_mov_b32 v235, v145 :: v_dual_mov_b32 v234, v144
	v_dual_mov_b32 v233, v143 :: v_dual_mov_b32 v232, v142
	v_mul_f64 v[144:145], v[18:19], s[16:17]
	v_dual_mov_b32 v159, v149 :: v_dual_mov_b32 v158, v148
	v_dual_mov_b32 v157, v147 :: v_dual_mov_b32 v156, v146
	v_mul_f64 v[148:149], v[20:21], s[34:35]
	v_dual_mov_b32 v240, v153 :: v_dual_mov_b32 v239, v152
	v_dual_mov_b32 v238, v151 :: v_dual_mov_b32 v237, v150
	v_add_f64 v[32:33], v[32:33], v[226:227]
	v_add_f64 v[34:35], v[34:35], v[224:225]
	v_fma_f64 v[42:43], v[16:17], s[20:21], v[40:41]
	v_fma_f64 v[134:135], v[48:49], s[10:11], -v[132:133]
	v_fma_f64 v[146:147], v[243:244], s[2:3], -v[144:145]
	v_add_f64 v[32:33], v[32:33], v[214:215]
	v_add_f64 v[34:35], v[34:35], v[212:213]
	s_delay_alu instid0(VALU_DEP_2) | instskip(NEXT) | instid1(VALU_DEP_2)
	v_add_f64 v[32:33], v[32:33], v[222:223]
	v_add_f64 v[34:35], v[34:35], v[220:221]
	s_delay_alu instid0(VALU_DEP_2) | instskip(NEXT) | instid1(VALU_DEP_2)
	;; [unrolled: 3-line block ×4, first 2 shown]
	v_add_f64 v[32:33], v[32:33], v[198:199]
	v_add_f64 v[34:35], v[34:35], v[196:197]
	v_mul_f64 v[196:197], v[24:25], s[40:41]
	v_mul_f64 v[198:199], v[24:25], s[30:31]
	s_delay_alu instid0(VALU_DEP_4) | instskip(NEXT) | instid1(VALU_DEP_4)
	v_add_f64 v[32:33], v[32:33], v[202:203]
	v_add_f64 v[34:35], v[34:35], v[200:201]
	s_delay_alu instid0(VALU_DEP_4)
	v_fma_f64 v[208:209], v[22:23], s[20:21], -v[196:197]
	v_fma_f64 v[196:197], v[22:23], s[20:21], v[196:197]
	v_fma_f64 v[210:211], v[22:23], s[10:11], -v[198:199]
	v_fma_f64 v[198:199], v[22:23], s[10:11], v[198:199]
	v_add_f64 v[32:33], v[32:33], v[190:191]
	v_add_f64 v[34:35], v[34:35], v[188:189]
	v_mul_f64 v[188:189], v[28:29], s[18:19]
	v_add_f64 v[38:39], v[160:161], v[196:197]
	v_mul_f64 v[196:197], v[2:3], s[40:41]
	v_add_f64 v[32:33], v[32:33], v[194:195]
	v_add_f64 v[34:35], v[34:35], v[192:193]
	v_fma_f64 v[190:191], v[26:27], s[8:9], v[188:189]
	v_mul_f64 v[192:193], v[24:25], s[34:35]
	v_mul_f64 v[194:195], v[24:25], s[42:43]
	v_add_f64 v[32:33], v[32:33], v[186:187]
	v_add_f64 v[34:35], v[34:35], v[184:185]
	v_mul_f64 v[184:185], v[28:29], s[30:31]
	v_fma_f64 v[204:205], v[22:23], s[24:25], -v[192:193]
	v_fma_f64 v[192:193], v[22:23], s[24:25], v[192:193]
	v_fma_f64 v[206:207], v[22:23], s[22:23], -v[194:195]
	v_fma_f64 v[194:195], v[22:23], s[22:23], v[194:195]
	v_add_f64 v[32:33], v[32:33], v[182:183]
	v_add_f64 v[34:35], v[34:35], v[180:181]
	v_mul_f64 v[180:181], v[28:29], s[40:41]
	v_fma_f64 v[186:187], v[26:27], s[10:11], v[184:185]
	v_fma_f64 v[184:185], v[26:27], s[10:11], -v[184:185]
	v_add_f64 v[226:227], v[160:161], v[204:205]
	v_add_f64 v[192:193], v[160:161], v[192:193]
	;; [unrolled: 1-line block ×5, first 2 shown]
	v_mul_f64 v[172:173], v[28:29], s[34:35]
	v_fma_f64 v[182:183], v[26:27], s[20:21], v[180:181]
	v_fma_f64 v[180:181], v[26:27], s[20:21], -v[180:181]
	v_add_f64 v[32:33], v[32:33], v[178:179]
	v_add_f64 v[34:35], v[34:35], v[176:177]
	v_mul_f64 v[176:177], v[28:29], s[42:43]
	v_fma_f64 v[174:175], v[26:27], s[24:25], v[172:173]
	v_fma_f64 v[172:173], v[26:27], s[24:25], -v[172:173]
	v_add_f64 v[32:33], v[32:33], v[170:171]
	v_add_f64 v[34:35], v[34:35], v[168:169]
	;; [unrolled: 5-line block ×3, first 2 shown]
	v_add_f64 v[58:59], v[32:33], v[58:59]
	v_mul_f64 v[32:33], v[28:29], s[36:37]
	v_mul_f64 v[28:29], v[28:29], s[16:17]
	v_add_f64 v[56:57], v[34:35], v[56:57]
	v_fma_f64 v[170:171], v[26:27], s[26:27], v[168:169]
	v_fma_f64 v[168:169], v[26:27], s[26:27], -v[168:169]
	v_fma_f64 v[34:35], v[26:27], s[28:29], v[32:33]
	v_fma_f64 v[32:33], v[26:27], s[28:29], -v[32:33]
	v_fma_f64 v[26:27], v[26:27], s[8:9], -v[188:189]
	v_add_f64 v[28:29], v[30:31], -v[28:29]
	v_mul_f64 v[30:31], v[24:25], s[36:37]
	v_mul_f64 v[188:189], v[24:25], s[38:39]
	;; [unrolled: 1-line block ×3, first 2 shown]
	v_add_f64 v[220:221], v[162:163], v[168:169]
	v_mul_f64 v[168:169], v[6:7], s[38:39]
	v_add_f64 v[218:219], v[162:163], v[170:171]
	v_mul_f64 v[170:171], v[164:165], s[38:39]
	v_add_f64 v[34:35], v[162:163], v[34:35]
	v_add_f64 v[32:33], v[162:163], v[32:33]
	;; [unrolled: 1-line block ×3, first 2 shown]
	v_fma_f64 v[200:201], v[22:23], s[28:29], -v[30:31]
	v_fma_f64 v[30:31], v[22:23], s[28:29], v[30:31]
	v_fma_f64 v[212:213], v[22:23], s[8:9], -v[24:25]
	v_fma_f64 v[214:215], v[22:23], s[8:9], v[24:25]
	v_add_f64 v[24:25], v[162:163], v[182:183]
	v_fma_f64 v[202:203], v[22:23], s[26:27], -v[188:189]
	v_fma_f64 v[188:189], v[22:23], s[26:27], v[188:189]
	v_mul_f64 v[22:23], v[22:23], s[2:3]
	v_add_f64 v[182:183], v[160:161], v[198:199]
	v_dual_mov_b32 v199, v61 :: v_dual_mov_b32 v198, v60
	s_delay_alu instid0(VALU_DEP_1)
	v_mul_f64 v[152:153], v[198:199], s[38:39]
	v_add_f64 v[200:201], v[160:161], v[200:201]
	v_add_f64 v[30:31], v[160:161], v[30:31]
	scratch_store_b64 off, v[24:25], off offset:656 ; 8-byte Folded Spill
	v_add_f64 v[24:25], v[160:161], v[208:209]
	v_add_f64 v[202:203], v[160:161], v[202:203]
	;; [unrolled: 1-line block ×8, first 2 shown]
	v_mul_f64 v[184:185], v[0:1], s[48:49]
	v_mul_f64 v[214:215], v[14:15], s[44:45]
	v_dual_mov_b32 v208, v247 :: v_dual_mov_b32 v209, v248
	v_mul_f64 v[247:248], v[70:71], s[42:43]
	scratch_store_b64 off, v[24:25], off offset:648 ; 8-byte Folded Spill
	v_add_f64 v[24:25], v[162:163], v[186:187]
	v_add_f64 v[174:175], v[160:161], v[216:217]
	v_mul_f64 v[186:187], v[60:61], s[48:49]
	v_mul_f64 v[216:217], v[64:65], s[44:45]
	scratch_store_b64 off, v[24:25], off offset:624 ; 8-byte Folded Spill
	v_add_f64 v[24:25], v[160:161], v[210:211]
	scratch_store_b64 off, v[22:23], off offset:672 ; 8-byte Folded Spill
	v_add_f64 v[22:23], v[160:161], v[206:207]
	v_dual_mov_b32 v211, v63 :: v_dual_mov_b32 v210, v62
	scratch_store_b64 off, v[24:25], off offset:616 ; 8-byte Folded Spill
	v_add_f64 v[24:25], v[162:163], v[190:191]
	scratch_store_b64 off, v[22:23], off offset:664 ; 8-byte Folded Spill
	v_add_f64 v[22:23], v[162:163], v[176:177]
	v_add_f64 v[176:177], v[162:163], v[26:27]
	v_mul_f64 v[26:27], v[2:3], s[50:51]
	v_fma_f64 v[162:163], v[253:254], s[26:27], v[168:169]
	v_mul_f64 v[190:191], v[10:11], s[34:35]
	scratch_store_b64 off, v[24:25], off offset:592 ; 8-byte Folded Spill
	v_add_f64 v[24:25], v[160:161], v[212:213]
	scratch_store_b128 off, v[56:59], off offset:552 ; 16-byte Folded Spill
	v_fma_f64 v[28:29], v[249:250], s[2:3], v[26:27]
	v_fma_f64 v[26:27], v[249:250], s[2:3], -v[26:27]
	scratch_store_b64 off, v[24:25], off offset:584 ; 8-byte Folded Spill
	v_add_f64 v[28:29], v[28:29], v[34:35]
	v_mul_f64 v[34:35], v[154:155], s[50:51]
	v_add_f64 v[26:27], v[26:27], v[32:33]
	s_delay_alu instid0(VALU_DEP_3) | instskip(NEXT) | instid1(VALU_DEP_3)
	v_add_f64 v[28:29], v[162:163], v[28:29]
	v_fma_f64 v[160:161], v[166:167], s[2:3], -v[34:35]
	v_fma_f64 v[32:33], v[166:167], s[2:3], v[34:35]
	v_fma_f64 v[162:163], v[44:45], s[26:27], -v[170:171]
	s_delay_alu instid0(VALU_DEP_3) | instskip(NEXT) | instid1(VALU_DEP_3)
	v_add_f64 v[160:161], v[160:161], v[200:201]
	v_add_f64 v[30:31], v[32:33], v[30:31]
	v_fma_f64 v[32:33], v[253:254], s[26:27], -v[168:169]
	v_mul_f64 v[200:201], v[62:63], s[34:35]
	s_delay_alu instid0(VALU_DEP_4) | instskip(SKIP_1) | instid1(VALU_DEP_4)
	v_add_f64 v[160:161], v[162:163], v[160:161]
	v_fma_f64 v[162:163], v[4:5], s[8:9], v[184:185]
	v_add_f64 v[26:27], v[32:33], v[26:27]
	v_fma_f64 v[32:33], v[44:45], s[26:27], v[170:171]
	v_mul_f64 v[4:5], v[18:19], s[42:43]
	v_dual_mov_b32 v171, v17 :: v_dual_mov_b32 v170, v16
	s_delay_alu instid0(VALU_DEP_1) | instskip(SKIP_4) | instid1(VALU_DEP_3)
	v_fma_f64 v[150:151], v[170:171], s[24:25], -v[148:149]
	v_add_f64 v[28:29], v[162:163], v[28:29]
	v_fma_f64 v[162:163], v[241:242], s[8:9], -v[186:187]
	v_add_f64 v[30:31], v[32:33], v[30:31]
	;; [unrolled: 2-line block ×3, first 2 shown]
	v_fma_f64 v[162:163], v[245:246], s[24:25], v[190:191]
	s_delay_alu instid0(VALU_DEP_3) | instskip(SKIP_1) | instid1(VALU_DEP_3)
	v_add_f64 v[26:27], v[32:33], v[26:27]
	v_fma_f64 v[32:33], v[241:242], s[8:9], v[186:187]
	v_add_f64 v[28:29], v[162:163], v[28:29]
	v_fma_f64 v[162:163], v[52:53], s[24:25], -v[200:201]
	s_delay_alu instid0(VALU_DEP_3) | instskip(SKIP_1) | instid1(VALU_DEP_3)
	v_add_f64 v[30:31], v[32:33], v[30:31]
	v_fma_f64 v[32:33], v[245:246], s[24:25], -v[190:191]
	v_add_f64 v[160:161], v[162:163], v[160:161]
	v_fma_f64 v[162:163], v[8:9], s[10:11], v[214:215]
	s_delay_alu instid0(VALU_DEP_3) | instskip(SKIP_1) | instid1(VALU_DEP_3)
	v_add_f64 v[26:27], v[32:33], v[26:27]
	v_fma_f64 v[32:33], v[52:53], s[24:25], v[200:201]
	v_add_f64 v[28:29], v[162:163], v[28:29]
	v_fma_f64 v[162:163], v[54:55], s[10:11], -v[216:217]
	s_delay_alu instid0(VALU_DEP_3) | instskip(SKIP_1) | instid1(VALU_DEP_3)
	v_add_f64 v[30:31], v[32:33], v[30:31]
	v_fma_f64 v[32:33], v[8:9], s[10:11], -v[214:215]
	v_add_f64 v[160:161], v[162:163], v[160:161]
	v_fma_f64 v[162:163], v[243:244], s[22:23], v[4:5]
	s_delay_alu instid0(VALU_DEP_3) | instskip(SKIP_2) | instid1(VALU_DEP_4)
	v_add_f64 v[26:27], v[32:33], v[26:27]
	v_fma_f64 v[32:33], v[54:55], s[10:11], v[216:217]
	v_fma_f64 v[4:5], v[243:244], s[22:23], -v[4:5]
	v_add_f64 v[28:29], v[162:163], v[28:29]
	v_fma_f64 v[162:163], v[66:67], s[22:23], -v[247:248]
	s_delay_alu instid0(VALU_DEP_4) | instskip(NEXT) | instid1(VALU_DEP_4)
	v_add_f64 v[30:31], v[32:33], v[30:31]
	v_add_f64 v[4:5], v[4:5], v[26:27]
	v_fma_f64 v[26:27], v[66:67], s[22:23], v[247:248]
	v_mul_f64 v[32:33], v[6:7], s[40:41]
	v_mul_f64 v[247:248], v[72:73], s[42:43]
	v_add_f64 v[58:59], v[42:43], v[28:29]
	v_mul_f64 v[28:29], v[72:73], s[46:47]
	v_add_f64 v[160:161], v[162:163], v[160:161]
	v_dual_mov_b32 v163, v71 :: v_dual_mov_b32 v162, v70
	v_add_f64 v[26:27], v[26:27], v[30:31]
	v_fma_f64 v[30:31], v[16:17], s[20:21], -v[40:41]
	v_fma_f64 v[34:35], v[253:254], s[20:21], v[32:33]
	v_fma_f64 v[32:33], v[253:254], s[20:21], -v[32:33]
	v_fma_f64 v[42:43], v[68:69], s[20:21], -v[28:29]
	v_fma_f64 v[28:29], v[68:69], s[20:21], v[28:29]
	v_add_f64 v[30:31], v[30:31], v[4:5]
	v_mul_f64 v[4:5], v[2:3], s[44:45]
	s_delay_alu instid0(VALU_DEP_4) | instskip(NEXT) | instid1(VALU_DEP_4)
	v_add_f64 v[56:57], v[42:43], v[160:161]
	v_add_f64 v[28:29], v[28:29], v[26:27]
	v_mul_f64 v[160:161], v[18:19], s[44:45]
	s_delay_alu instid0(VALU_DEP_4)
	v_fma_f64 v[26:27], v[249:250], s[10:11], v[4:5]
	v_fma_f64 v[4:5], v[249:250], s[10:11], -v[4:5]
	s_clause 0x1
	scratch_store_b128 off, v[56:59], off offset:568
	scratch_store_b128 off, v[28:31], off offset:600
	v_mul_f64 v[30:31], v[154:155], s[44:45]
	v_mul_f64 v[56:57], v[6:7], s[56:57]
	v_add_f64 v[26:27], v[26:27], v[218:219]
	v_add_f64 v[4:5], v[4:5], v[220:221]
	v_mul_f64 v[218:219], v[20:21], s[42:43]
	v_mul_f64 v[220:221], v[62:63], s[54:55]
	v_fma_f64 v[28:29], v[166:167], s[10:11], -v[30:31]
	v_fma_f64 v[30:31], v[166:167], s[10:11], v[30:31]
	v_fma_f64 v[58:59], v[253:254], s[28:29], -v[56:57]
	v_add_f64 v[26:27], v[34:35], v[26:27]
	v_mul_f64 v[34:35], v[164:165], s[40:41]
	v_add_f64 v[4:5], v[32:33], v[4:5]
	v_add_f64 v[28:29], v[28:29], v[202:203]
	;; [unrolled: 1-line block ×3, first 2 shown]
	v_mul_f64 v[188:189], v[10:11], s[42:43]
	s_mov_b32 s43, 0x3feec746
	v_fma_f64 v[40:41], v[44:45], s[20:21], -v[34:35]
	v_fma_f64 v[32:33], v[44:45], s[20:21], v[34:35]
	v_fma_f64 v[34:35], v[68:69], s[22:23], v[247:248]
	v_mul_f64 v[168:169], v[64:65], s[42:43]
	v_add_f64 v[188:189], v[98:99], -v[188:189]
	v_add_f64 v[28:29], v[40:41], v[28:29]
	v_mul_f64 v[40:41], v[0:1], s[52:53]
	v_add_f64 v[30:31], v[32:33], v[30:31]
	v_fma_f64 v[46:47], v[54:55], s[22:23], v[168:169]
	s_delay_alu instid0(VALU_DEP_3) | instskip(SKIP_2) | instid1(VALU_DEP_3)
	v_fma_f64 v[42:43], v[48:49], s[24:25], v[40:41]
	v_fma_f64 v[32:33], v[48:49], s[24:25], -v[40:41]
	v_mul_f64 v[40:41], v[6:7], s[30:31]
	v_add_f64 v[26:27], v[42:43], v[26:27]
	v_mul_f64 v[42:43], v[60:61], s[52:53]
	s_delay_alu instid0(VALU_DEP_4) | instskip(NEXT) | instid1(VALU_DEP_4)
	v_add_f64 v[4:5], v[32:33], v[4:5]
	v_add_f64 v[40:41], v[80:81], -v[40:41]
	v_dual_mov_b32 v81, v67 :: v_dual_mov_b32 v80, v66
	s_delay_alu instid0(VALU_DEP_4) | instskip(SKIP_2) | instid1(VALU_DEP_3)
	v_fma_f64 v[184:185], v[241:242], s[24:25], -v[42:43]
	v_fma_f64 v[32:33], v[241:242], s[24:25], v[42:43]
	v_mul_f64 v[42:43], v[44:45], s[10:11]
	v_add_f64 v[28:29], v[184:185], v[28:29]
	v_mul_f64 v[184:185], v[10:11], s[16:17]
	s_delay_alu instid0(VALU_DEP_4) | instskip(NEXT) | instid1(VALU_DEP_4)
	v_add_f64 v[30:31], v[32:33], v[30:31]
	v_add_f64 v[42:43], v[42:43], v[78:79]
	s_delay_alu instid0(VALU_DEP_3) | instskip(SKIP_2) | instid1(VALU_DEP_3)
	v_fma_f64 v[186:187], v[245:246], s[2:3], v[184:185]
	v_fma_f64 v[32:33], v[245:246], s[2:3], -v[184:185]
	v_mul_f64 v[184:185], v[0:1], s[40:41]
	v_add_f64 v[26:27], v[186:187], v[26:27]
	v_mul_f64 v[186:187], v[62:63], s[16:17]
	s_delay_alu instid0(VALU_DEP_4) | instskip(NEXT) | instid1(VALU_DEP_4)
	v_add_f64 v[4:5], v[32:33], v[4:5]
	v_add_f64 v[184:185], v[92:93], -v[184:185]
	v_mul_f64 v[92:93], v[164:165], s[42:43]
	s_delay_alu instid0(VALU_DEP_4) | instskip(SKIP_2) | instid1(VALU_DEP_3)
	v_fma_f64 v[190:191], v[52:53], s[2:3], -v[186:187]
	v_fma_f64 v[32:33], v[52:53], s[2:3], v[186:187]
	v_mul_f64 v[186:187], v[241:242], s[20:21]
	v_add_f64 v[28:29], v[190:191], v[28:29]
	v_mul_f64 v[190:191], v[14:15], s[36:37]
	s_delay_alu instid0(VALU_DEP_4) | instskip(NEXT) | instid1(VALU_DEP_4)
	v_add_f64 v[30:31], v[32:33], v[30:31]
	v_add_f64 v[186:187], v[186:187], v[82:83]
	v_dual_mov_b32 v83, v9 :: v_dual_mov_b32 v82, v8
	s_delay_alu instid0(VALU_DEP_4) | instskip(SKIP_2) | instid1(VALU_DEP_3)
	v_fma_f64 v[200:201], v[8:9], s[28:29], v[190:191]
	v_fma_f64 v[32:33], v[8:9], s[28:29], -v[190:191]
	v_mul_f64 v[190:191], v[52:53], s[22:23]
	v_add_f64 v[26:27], v[200:201], v[26:27]
	v_mul_f64 v[200:201], v[64:65], s[36:37]
	s_delay_alu instid0(VALU_DEP_4) | instskip(NEXT) | instid1(VALU_DEP_4)
	v_add_f64 v[4:5], v[32:33], v[4:5]
	v_add_f64 v[190:191], v[190:191], v[94:95]
	v_fma_f64 v[94:95], v[44:45], s[22:23], v[92:93]
	s_delay_alu instid0(VALU_DEP_4) | instskip(SKIP_2) | instid1(VALU_DEP_3)
	v_fma_f64 v[202:203], v[54:55], s[28:29], -v[200:201]
	v_fma_f64 v[32:33], v[54:55], s[28:29], v[200:201]
	v_mul_f64 v[200:201], v[14:15], s[34:35]
	v_add_f64 v[28:29], v[202:203], v[28:29]
	v_mul_f64 v[202:203], v[18:19], s[48:49]
	s_delay_alu instid0(VALU_DEP_4) | instskip(NEXT) | instid1(VALU_DEP_4)
	v_add_f64 v[30:31], v[32:33], v[30:31]
	v_add_f64 v[200:201], v[102:103], -v[200:201]
	s_delay_alu instid0(VALU_DEP_3) | instskip(SKIP_2) | instid1(VALU_DEP_3)
	v_fma_f64 v[214:215], v[243:244], s[8:9], v[202:203]
	v_fma_f64 v[32:33], v[243:244], s[8:9], -v[202:203]
	v_mul_f64 v[202:203], v[164:165], s[34:35]
	v_add_f64 v[26:27], v[214:215], v[26:27]
	v_mul_f64 v[214:215], v[70:71], s[48:49]
	s_delay_alu instid0(VALU_DEP_4) | instskip(NEXT) | instid1(VALU_DEP_2)
	v_add_f64 v[4:5], v[32:33], v[4:5]
	v_fma_f64 v[32:33], v[66:67], s[8:9], v[214:215]
	v_fma_f64 v[216:217], v[66:67], s[8:9], -v[214:215]
	v_mul_f64 v[214:215], v[0:1], s[36:37]
	s_delay_alu instid0(VALU_DEP_3) | instskip(SKIP_1) | instid1(VALU_DEP_4)
	v_add_f64 v[30:31], v[32:33], v[30:31]
	v_fma_f64 v[32:33], v[16:17], s[22:23], -v[218:219]
	v_add_f64 v[216:217], v[216:217], v[28:29]
	v_fma_f64 v[28:29], v[16:17], s[22:23], v[218:219]
	v_mul_f64 v[218:219], v[10:11], s[54:55]
	v_add_f64 v[204:205], v[34:35], v[30:31]
	v_add_f64 v[206:207], v[32:33], v[4:5]
	v_mul_f64 v[4:5], v[2:3], s[18:19]
	v_mul_f64 v[34:35], v[166:167], s[8:9]
	v_add_f64 v[28:29], v[28:29], v[26:27]
	v_fma_f64 v[26:27], v[68:69], s[22:23], -v[247:248]
	v_mul_f64 v[247:248], v[14:15], s[42:43]
	v_mul_f64 v[32:33], v[154:155], s[34:35]
	;; [unrolled: 1-line block ×3, first 2 shown]
	v_add_f64 v[4:5], v[76:77], -v[4:5]
	v_add_f64 v[34:35], v[34:35], v[74:75]
	v_mul_f64 v[76:77], v[20:21], s[38:39]
	v_add_f64 v[26:27], v[26:27], v[216:217]
	v_mul_f64 v[216:217], v[60:61], s[36:37]
	v_mul_f64 v[60:61], v[0:1], s[42:43]
	v_add_f64 v[4:5], v[4:5], v[172:173]
	v_add_f64 v[34:35], v[34:35], v[174:175]
	v_mul_f64 v[172:173], v[54:55], s[24:25]
	v_mul_f64 v[174:175], v[20:21], s[36:37]
	scratch_store_b128 off, v[26:29], off offset:632 ; 16-byte Folded Spill
	v_fma_f64 v[62:63], v[48:49], s[22:23], -v[60:61]
	v_mul_f64 v[28:29], v[18:19], s[40:41]
	v_fma_f64 v[78:79], v[16:17], s[26:27], -v[76:77]
	v_dual_mov_b32 v24, v228 :: v_dual_mov_b32 v25, v229
	v_dual_mov_b32 v26, v230 :: v_dual_mov_b32 v27, v231
	;; [unrolled: 1-line block ×4, first 2 shown]
	v_fma_f64 v[138:139], v[245:246], s[28:29], -v[136:137]
	v_mul_f64 v[140:141], v[14:15], s[46:47]
	v_add_f64 v[4:5], v[40:41], v[4:5]
	v_add_f64 v[34:35], v[42:43], v[34:35]
	;; [unrolled: 1-line block ×3, first 2 shown]
	v_mul_f64 v[40:41], v[18:19], s[38:39]
	v_mul_f64 v[42:43], v[66:67], s[26:27]
	v_add_f64 v[174:175], v[124:125], -v[174:175]
	v_fma_f64 v[74:75], v[243:244], s[20:21], -v[28:29]
	v_mul_f64 v[96:97], v[198:199], s[50:51]
	v_mul_f64 v[124:125], v[162:163], s[52:53]
	v_fma_f64 v[142:143], v[82:83], s[20:21], -v[140:141]
	v_add_f64 v[4:5], v[184:185], v[4:5]
	v_add_f64 v[34:35], v[186:187], v[34:35]
	v_add_f64 v[40:41], v[106:107], -v[40:41]
	v_add_f64 v[42:43], v[42:43], v[100:101]
	v_mul_f64 v[100:101], v[210:211], s[30:31]
	v_fma_f64 v[98:99], v[241:242], s[2:3], v[96:97]
	v_fma_f64 v[126:127], v[80:81], s[24:25], v[124:125]
	v_add_f64 v[4:5], v[188:189], v[4:5]
	v_add_f64 v[34:35], v[190:191], v[34:35]
	v_fma_f64 v[102:103], v[52:53], s[10:11], v[100:101]
	s_delay_alu instid0(VALU_DEP_3) | instskip(NEXT) | instid1(VALU_DEP_3)
	v_add_f64 v[4:5], v[200:201], v[4:5]
	v_add_f64 v[34:35], v[172:173], v[34:35]
	v_mul_f64 v[172:173], v[68:69], s[28:29]
	v_mul_f64 v[200:201], v[6:7], s[34:35]
	s_delay_alu instid0(VALU_DEP_4) | instskip(NEXT) | instid1(VALU_DEP_4)
	v_add_f64 v[4:5], v[40:41], v[4:5]
	v_add_f64 v[34:35], v[42:43], v[34:35]
	s_delay_alu instid0(VALU_DEP_4)
	v_add_f64 v[172:173], v[172:173], v[104:105]
	v_mul_f64 v[40:41], v[72:73], s[50:51]
	v_mul_f64 v[104:105], v[64:65], s[38:39]
	v_add_f64 v[174:175], v[174:175], v[4:5]
	v_fma_f64 v[4:5], v[249:250], s[20:21], -v[196:197]
	v_add_f64 v[172:173], v[172:173], v[34:35]
	v_mul_f64 v[34:35], v[154:155], s[40:41]
	v_fma_f64 v[106:107], v[54:55], s[26:27], v[104:105]
	s_delay_alu instid0(VALU_DEP_4) | instskip(SKIP_1) | instid1(VALU_DEP_4)
	v_add_f64 v[4:5], v[4:5], v[176:177]
	v_fma_f64 v[176:177], v[253:254], s[24:25], -v[200:201]
	v_fma_f64 v[42:43], v[166:167], s[20:21], v[34:35]
	s_delay_alu instid0(VALU_DEP_2) | instskip(NEXT) | instid1(VALU_DEP_2)
	v_add_f64 v[4:5], v[176:177], v[4:5]
	v_add_f64 v[42:43], v[42:43], v[178:179]
	v_fma_f64 v[176:177], v[44:45], s[24:25], v[202:203]
	s_delay_alu instid0(VALU_DEP_1) | instskip(SKIP_1) | instid1(VALU_DEP_1)
	v_add_f64 v[42:43], v[176:177], v[42:43]
	v_fma_f64 v[176:177], v[48:49], s[28:29], -v[214:215]
	v_add_f64 v[4:5], v[176:177], v[4:5]
	v_fma_f64 v[176:177], v[241:242], s[28:29], v[216:217]
	s_delay_alu instid0(VALU_DEP_1) | instskip(SKIP_1) | instid1(VALU_DEP_1)
	v_add_f64 v[42:43], v[176:177], v[42:43]
	v_fma_f64 v[176:177], v[245:246], s[26:27], -v[218:219]
	v_add_f64 v[4:5], v[176:177], v[4:5]
	v_fma_f64 v[176:177], v[52:53], s[26:27], v[220:221]
	s_delay_alu instid0(VALU_DEP_1) | instskip(SKIP_1) | instid1(VALU_DEP_2)
	v_add_f64 v[42:43], v[176:177], v[42:43]
	v_fma_f64 v[176:177], v[8:9], s[22:23], -v[247:248]
	v_add_f64 v[42:43], v[46:47], v[42:43]
	v_mul_f64 v[46:47], v[70:71], s[44:45]
	s_delay_alu instid0(VALU_DEP_3) | instskip(SKIP_2) | instid1(VALU_DEP_4)
	v_add_f64 v[4:5], v[176:177], v[4:5]
	v_fma_f64 v[176:177], v[243:244], s[10:11], -v[160:161]
	v_fma_f64 v[70:71], v[8:9], s[2:3], -v[30:31]
	v_fma_f64 v[50:51], v[66:67], s[10:11], v[46:47]
	v_fma_f64 v[66:67], v[245:246], s[8:9], -v[251:252]
	s_delay_alu instid0(VALU_DEP_4) | instskip(NEXT) | instid1(VALU_DEP_3)
	v_add_f64 v[4:5], v[176:177], v[4:5]
	v_add_f64 v[42:43], v[50:51], v[42:43]
	v_mul_f64 v[50:51], v[20:21], s[50:51]
	s_delay_alu instid0(VALU_DEP_1) | instskip(SKIP_1) | instid1(VALU_DEP_2)
	v_fma_f64 v[176:177], v[16:17], s[2:3], -v[50:51]
	v_mul_f64 v[16:17], v[6:7], s[42:43]
	v_add_f64 v[178:179], v[176:177], v[4:5]
	v_fma_f64 v[4:5], v[68:69], s[2:3], v[40:41]
	s_delay_alu instid0(VALU_DEP_1) | instskip(SKIP_1) | instid1(VALU_DEP_1)
	v_add_f64 v[176:177], v[4:5], v[42:43]
	v_mul_f64 v[42:43], v[2:3], s[34:35]
	v_fma_f64 v[4:5], v[249:250], s[24:25], -v[42:43]
	s_delay_alu instid0(VALU_DEP_1) | instskip(SKIP_1) | instid1(VALU_DEP_2)
	v_add_f64 v[4:5], v[4:5], v[180:181]
	v_fma_f64 v[180:181], v[166:167], s[24:25], v[32:33]
	v_add_f64 v[4:5], v[58:59], v[4:5]
	v_mul_f64 v[58:59], v[164:165], s[56:57]
	s_delay_alu instid0(VALU_DEP_3) | instskip(NEXT) | instid1(VALU_DEP_3)
	v_add_f64 v[180:181], v[180:181], v[182:183]
	v_add_f64 v[4:5], v[62:63], v[4:5]
	s_delay_alu instid0(VALU_DEP_3) | instskip(SKIP_1) | instid1(VALU_DEP_3)
	v_fma_f64 v[182:183], v[44:45], s[28:29], v[58:59]
	v_mul_f64 v[62:63], v[198:199], s[42:43]
	v_add_f64 v[4:5], v[66:67], v[4:5]
	s_delay_alu instid0(VALU_DEP_3) | instskip(NEXT) | instid1(VALU_DEP_3)
	v_add_f64 v[180:181], v[182:183], v[180:181]
	v_fma_f64 v[182:183], v[241:242], s[22:23], v[62:63]
	v_mul_f64 v[66:67], v[210:211], s[48:49]
	s_delay_alu instid0(VALU_DEP_4) | instskip(SKIP_1) | instid1(VALU_DEP_4)
	v_add_f64 v[4:5], v[70:71], v[4:5]
	v_mul_f64 v[70:71], v[64:65], s[16:17]
	v_add_f64 v[180:181], v[182:183], v[180:181]
	s_delay_alu instid0(VALU_DEP_4) | instskip(NEXT) | instid1(VALU_DEP_4)
	v_fma_f64 v[182:183], v[52:53], s[8:9], v[66:67]
	v_add_f64 v[4:5], v[74:75], v[4:5]
	v_mul_f64 v[74:75], v[162:163], s[40:41]
	s_delay_alu instid0(VALU_DEP_3) | instskip(SKIP_1) | instid1(VALU_DEP_1)
	v_add_f64 v[180:181], v[182:183], v[180:181]
	v_fma_f64 v[182:183], v[54:55], s[2:3], v[70:71]
	v_add_f64 v[180:181], v[182:183], v[180:181]
	s_delay_alu instid0(VALU_DEP_4) | instskip(NEXT) | instid1(VALU_DEP_1)
	v_fma_f64 v[182:183], v[80:81], s[20:21], v[74:75]
	v_add_f64 v[180:181], v[182:183], v[180:181]
	v_add_f64 v[182:183], v[78:79], v[4:5]
	v_mul_f64 v[78:79], v[72:73], s[38:39]
	s_delay_alu instid0(VALU_DEP_1) | instskip(NEXT) | instid1(VALU_DEP_1)
	v_fma_f64 v[4:5], v[68:69], s[26:27], v[78:79]
	v_add_f64 v[180:181], v[4:5], v[180:181]
	v_fma_f64 v[4:5], v[249:250], s[28:29], -v[12:13]
	v_fma_f64 v[12:13], v[249:250], s[28:29], v[12:13]
	s_delay_alu instid0(VALU_DEP_2) | instskip(SKIP_1) | instid1(VALU_DEP_1)
	v_add_f64 v[4:5], v[4:5], v[36:37]
	v_mul_f64 v[36:37], v[154:155], s[36:37]
	v_fma_f64 v[184:185], v[166:167], s[28:29], v[36:37]
	s_delay_alu instid0(VALU_DEP_1) | instskip(SKIP_2) | instid1(VALU_DEP_3)
	v_add_f64 v[38:39], v[184:185], v[38:39]
	v_fma_f64 v[184:185], v[253:254], s[22:23], -v[16:17]
	v_fma_f64 v[16:17], v[253:254], s[22:23], v[16:17]
	v_add_f64 v[38:39], v[94:95], v[38:39]
	v_mul_f64 v[94:95], v[0:1], s[50:51]
	s_delay_alu instid0(VALU_DEP_4) | instskip(NEXT) | instid1(VALU_DEP_3)
	v_add_f64 v[4:5], v[184:185], v[4:5]
	v_add_f64 v[38:39], v[98:99], v[38:39]
	s_delay_alu instid0(VALU_DEP_3) | instskip(SKIP_2) | instid1(VALU_DEP_4)
	v_fma_f64 v[184:185], v[48:49], s[2:3], -v[94:95]
	v_mul_f64 v[98:99], v[10:11], s[30:31]
	v_mul_f64 v[10:11], v[10:11], s[46:47]
	v_add_f64 v[38:39], v[102:103], v[38:39]
	s_delay_alu instid0(VALU_DEP_4) | instskip(NEXT) | instid1(VALU_DEP_4)
	v_add_f64 v[4:5], v[184:185], v[4:5]
	v_fma_f64 v[184:185], v[245:246], s[10:11], -v[98:99]
	v_mul_f64 v[102:103], v[14:15], s[38:39]
	v_mul_f64 v[14:15], v[14:15], s[18:19]
	v_add_f64 v[38:39], v[106:107], v[38:39]
	v_mul_f64 v[106:107], v[18:19], s[52:53]
	v_add_f64 v[4:5], v[184:185], v[4:5]
	v_fma_f64 v[184:185], v[8:9], s[26:27], -v[102:103]
	v_mul_f64 v[8:9], v[164:165], s[48:49]
	v_mul_f64 v[18:19], v[18:19], s[36:37]
	v_add_f64 v[38:39], v[126:127], v[38:39]
	v_mul_f64 v[126:127], v[20:21], s[48:49]
	v_mul_f64 v[20:21], v[20:21], s[44:45]
	v_add_f64 v[4:5], v[184:185], v[4:5]
	v_fma_f64 v[184:185], v[243:244], s[24:25], -v[106:107]
	s_delay_alu instid0(VALU_DEP_1) | instskip(SKIP_1) | instid1(VALU_DEP_1)
	v_add_f64 v[4:5], v[184:185], v[4:5]
	v_fma_f64 v[184:185], v[170:171], s[8:9], -v[126:127]
	v_add_f64 v[186:187], v[184:185], v[4:5]
	v_fma_f64 v[4:5], v[68:69], s[8:9], v[128:129]
	s_delay_alu instid0(VALU_DEP_1) | instskip(SKIP_1) | instid1(VALU_DEP_1)
	v_add_f64 v[184:185], v[4:5], v[38:39]
	v_mul_f64 v[38:39], v[2:3], s[54:55]
	v_fma_f64 v[4:5], v[249:250], s[26:27], -v[38:39]
	s_delay_alu instid0(VALU_DEP_1) | instskip(SKIP_1) | instid1(VALU_DEP_1)
	v_add_f64 v[4:5], v[4:5], v[22:23]
	v_mul_f64 v[22:23], v[154:155], s[54:55]
	v_fma_f64 v[130:131], v[166:167], s[26:27], v[22:23]
	s_delay_alu instid0(VALU_DEP_1) | instskip(SKIP_2) | instid1(VALU_DEP_2)
	v_add_f64 v[130:131], v[130:131], v[194:195]
	v_mul_f64 v[194:195], v[6:7], s[48:49]
	v_mul_f64 v[6:7], v[6:7], s[16:17]
	v_fma_f64 v[188:189], v[253:254], s[8:9], -v[194:195]
	s_delay_alu instid0(VALU_DEP_1) | instskip(SKIP_2) | instid1(VALU_DEP_3)
	v_add_f64 v[4:5], v[188:189], v[4:5]
	v_fma_f64 v[188:189], v[44:45], s[8:9], v[8:9]
	v_fma_f64 v[8:9], v[44:45], s[8:9], -v[8:9]
	v_add_f64 v[4:5], v[134:135], v[4:5]
	v_mul_f64 v[134:135], v[198:199], s[30:31]
	s_delay_alu instid0(VALU_DEP_4) | instskip(NEXT) | instid1(VALU_DEP_3)
	v_add_f64 v[130:131], v[188:189], v[130:131]
	v_add_f64 v[4:5], v[138:139], v[4:5]
	s_delay_alu instid0(VALU_DEP_3) | instskip(SKIP_1) | instid1(VALU_DEP_3)
	v_fma_f64 v[188:189], v[241:242], s[10:11], v[134:135]
	v_mul_f64 v[138:139], v[210:211], s[36:37]
	v_add_f64 v[4:5], v[142:143], v[4:5]
	s_delay_alu instid0(VALU_DEP_3) | instskip(NEXT) | instid1(VALU_DEP_3)
	v_add_f64 v[130:131], v[188:189], v[130:131]
	v_fma_f64 v[188:189], v[52:53], s[28:29], v[138:139]
	v_mul_f64 v[142:143], v[64:65], s[46:47]
	s_delay_alu instid0(VALU_DEP_4) | instskip(SKIP_1) | instid1(VALU_DEP_4)
	v_add_f64 v[4:5], v[146:147], v[4:5]
	v_mul_f64 v[146:147], v[162:163], s[16:17]
	v_add_f64 v[130:131], v[188:189], v[130:131]
	s_delay_alu instid0(VALU_DEP_4) | instskip(NEXT) | instid1(VALU_DEP_4)
	v_fma_f64 v[188:189], v[54:55], s[20:21], v[142:143]
	v_add_f64 v[190:191], v[150:151], v[4:5]
	v_mul_f64 v[150:151], v[72:73], s[34:35]
	s_delay_alu instid0(VALU_DEP_3) | instskip(SKIP_1) | instid1(VALU_DEP_3)
	v_add_f64 v[130:131], v[188:189], v[130:131]
	v_fma_f64 v[188:189], v[80:81], s[2:3], v[146:147]
	v_fma_f64 v[4:5], v[68:69], s[24:25], v[150:151]
	s_delay_alu instid0(VALU_DEP_2) | instskip(NEXT) | instid1(VALU_DEP_1)
	v_add_f64 v[130:131], v[188:189], v[130:131]
	v_add_f64 v[188:189], v[4:5], v[130:131]
	v_mul_f64 v[4:5], v[2:3], s[42:43]
	v_mul_f64 v[130:131], v[154:155], s[42:43]
	v_fma_f64 v[154:155], v[245:246], s[20:21], -v[10:11]
	v_fma_f64 v[10:11], v[245:246], s[20:21], v[10:11]
	s_delay_alu instid0(VALU_DEP_4) | instskip(SKIP_1) | instid1(VALU_DEP_2)
	v_fma_f64 v[2:3], v[249:250], s[22:23], -v[4:5]
	v_fma_f64 v[4:5], v[249:250], s[22:23], v[4:5]
	v_add_f64 v[2:3], v[2:3], v[224:225]
	v_fma_f64 v[224:225], v[166:167], s[22:23], v[130:131]
	s_delay_alu instid0(VALU_DEP_3) | instskip(SKIP_1) | instid1(VALU_DEP_3)
	v_add_f64 v[4:5], v[4:5], v[222:223]
	v_fma_f64 v[130:131], v[166:167], s[22:23], -v[130:131]
	v_add_f64 v[192:193], v[224:225], v[192:193]
	v_fma_f64 v[224:225], v[253:254], s[2:3], -v[6:7]
	v_fma_f64 v[6:7], v[253:254], s[2:3], v[6:7]
	s_delay_alu instid0(VALU_DEP_4) | instskip(NEXT) | instid1(VALU_DEP_3)
	v_add_f64 v[130:131], v[130:131], v[226:227]
	v_add_f64 v[2:3], v[224:225], v[2:3]
	v_mul_f64 v[224:225], v[164:165], s[16:17]
	s_delay_alu instid0(VALU_DEP_4) | instskip(SKIP_1) | instid1(VALU_DEP_3)
	v_add_f64 v[4:5], v[6:7], v[4:5]
	v_mul_f64 v[164:165], v[72:73], s[44:45]
	v_fma_f64 v[212:213], v[44:45], s[2:3], v[224:225]
	v_fma_f64 v[6:7], v[44:45], s[2:3], -v[224:225]
	s_delay_alu instid0(VALU_DEP_2) | instskip(SKIP_1) | instid1(VALU_DEP_3)
	v_add_f64 v[192:193], v[212:213], v[192:193]
	v_mul_f64 v[212:213], v[0:1], s[38:39]
	v_add_f64 v[6:7], v[6:7], v[130:131]
	s_delay_alu instid0(VALU_DEP_2) | instskip(SKIP_1) | instid1(VALU_DEP_2)
	v_fma_f64 v[0:1], v[48:49], s[26:27], -v[212:213]
	v_fma_f64 v[130:131], v[48:49], s[26:27], v[212:213]
	v_add_f64 v[0:1], v[0:1], v[2:3]
	v_fma_f64 v[2:3], v[241:242], s[26:27], v[152:153]
	s_delay_alu instid0(VALU_DEP_3) | instskip(SKIP_1) | instid1(VALU_DEP_4)
	v_add_f64 v[4:5], v[130:131], v[4:5]
	v_fma_f64 v[130:131], v[241:242], s[26:27], -v[152:153]
	v_add_f64 v[0:1], v[154:155], v[0:1]
	v_mul_f64 v[154:155], v[210:211], s[46:47]
	v_add_f64 v[2:3], v[2:3], v[192:193]
	s_delay_alu instid0(VALU_DEP_4) | instskip(SKIP_1) | instid1(VALU_DEP_4)
	v_add_f64 v[6:7], v[130:131], v[6:7]
	v_add_f64 v[4:5], v[10:11], v[4:5]
	v_fma_f64 v[192:193], v[52:53], s[20:21], v[154:155]
	v_fma_f64 v[10:11], v[52:53], s[20:21], -v[154:155]
	s_delay_alu instid0(VALU_DEP_2) | instskip(SKIP_1) | instid1(VALU_DEP_3)
	v_add_f64 v[2:3], v[192:193], v[2:3]
	v_fma_f64 v[192:193], v[82:83], s[8:9], -v[14:15]
	v_add_f64 v[6:7], v[10:11], v[6:7]
	v_fma_f64 v[10:11], v[82:83], s[8:9], v[14:15]
	v_fma_f64 v[14:15], v[68:69], s[10:11], -v[164:165]
	s_delay_alu instid0(VALU_DEP_4) | instskip(SKIP_1) | instid1(VALU_DEP_4)
	v_add_f64 v[0:1], v[192:193], v[0:1]
	v_mul_f64 v[192:193], v[64:65], s[18:19]
	v_add_f64 v[4:5], v[10:11], v[4:5]
	s_delay_alu instid0(VALU_DEP_2) | instskip(SKIP_1) | instid1(VALU_DEP_2)
	v_fma_f64 v[198:199], v[54:55], s[8:9], v[192:193]
	v_fma_f64 v[10:11], v[54:55], s[8:9], -v[192:193]
	v_add_f64 v[2:3], v[198:199], v[2:3]
	v_fma_f64 v[198:199], v[243:244], s[28:29], -v[18:19]
	s_delay_alu instid0(VALU_DEP_3)
	v_add_f64 v[6:7], v[10:11], v[6:7]
	v_fma_f64 v[10:11], v[243:244], s[28:29], v[18:19]
	scratch_load_b64 v[18:19], off, off offset:664 ; 8-byte Folded Reload
	v_add_f64 v[0:1], v[198:199], v[0:1]
	v_mul_f64 v[198:199], v[162:163], s[36:37]
	v_add_f64 v[4:5], v[10:11], v[4:5]
	s_delay_alu instid0(VALU_DEP_2) | instskip(SKIP_1) | instid1(VALU_DEP_2)
	v_fma_f64 v[10:11], v[80:81], s[28:29], -v[198:199]
	v_fma_f64 v[210:211], v[80:81], s[28:29], v[198:199]
	v_add_f64 v[10:11], v[10:11], v[6:7]
	v_fma_f64 v[6:7], v[170:171], s[10:11], v[20:21]
	s_delay_alu instid0(VALU_DEP_3)
	v_add_f64 v[210:211], v[210:211], v[2:3]
	v_fma_f64 v[2:3], v[170:171], s[10:11], -v[20:21]
	scratch_load_b64 v[20:21], off, off offset:616 ; 8-byte Folded Reload
	v_add_f64 v[6:7], v[6:7], v[4:5]
	v_add_f64 v[4:5], v[14:15], v[10:11]
	scratch_load_b64 v[14:15], off, off offset:672 ; 8-byte Folded Reload
	v_fma_f64 v[10:11], v[249:250], s[26:27], v[38:39]
	v_add_f64 v[2:3], v[2:3], v[0:1]
	v_fma_f64 v[0:1], v[68:69], s[10:11], v[164:165]
	s_delay_alu instid0(VALU_DEP_1) | instskip(SKIP_1) | instid1(VALU_DEP_4)
	v_add_f64 v[0:1], v[0:1], v[210:211]
	s_waitcnt vmcnt(0)
	v_add_f64 v[10:11], v[10:11], v[14:15]
	v_fma_f64 v[14:15], v[166:167], s[26:27], -v[22:23]
	v_fma_f64 v[22:23], v[68:69], s[26:27], -v[78:79]
	s_delay_alu instid0(VALU_DEP_2) | instskip(SKIP_1) | instid1(VALU_DEP_2)
	v_add_f64 v[14:15], v[14:15], v[18:19]
	v_fma_f64 v[18:19], v[253:254], s[8:9], v[194:195]
	v_add_f64 v[8:9], v[8:9], v[14:15]
	s_delay_alu instid0(VALU_DEP_2) | instskip(SKIP_4) | instid1(VALU_DEP_4)
	v_add_f64 v[10:11], v[18:19], v[10:11]
	v_fma_f64 v[14:15], v[48:49], s[10:11], v[132:133]
	v_fma_f64 v[18:19], v[68:69], s[24:25], -v[150:151]
	v_dual_mov_b32 v150, v237 :: v_dual_mov_b32 v151, v238
	v_dual_mov_b32 v152, v239 :: v_dual_mov_b32 v153, v240
	v_add_f64 v[10:11], v[14:15], v[10:11]
	v_fma_f64 v[14:15], v[241:242], s[10:11], -v[134:135]
	s_delay_alu instid0(VALU_DEP_1) | instskip(SKIP_1) | instid1(VALU_DEP_1)
	v_add_f64 v[8:9], v[14:15], v[8:9]
	v_fma_f64 v[14:15], v[245:246], s[28:29], v[136:137]
	v_add_f64 v[10:11], v[14:15], v[10:11]
	v_fma_f64 v[14:15], v[52:53], s[28:29], -v[138:139]
	s_delay_alu instid0(VALU_DEP_1)
	v_add_f64 v[8:9], v[14:15], v[8:9]
	v_fma_f64 v[14:15], v[82:83], s[20:21], v[140:141]
	v_dual_mov_b32 v138, v228 :: v_dual_mov_b32 v139, v229
	v_dual_mov_b32 v140, v230 :: v_dual_mov_b32 v141, v231
	;; [unrolled: 1-line block ×4, first 2 shown]
	scratch_load_b64 v[26:27], off, off offset:592 ; 8-byte Folded Reload
	v_fma_f64 v[24:25], v[253:254], s[24:25], v[200:201]
	v_add_f64 v[10:11], v[14:15], v[10:11]
	v_fma_f64 v[14:15], v[54:55], s[20:21], -v[142:143]
	s_delay_alu instid0(VALU_DEP_1) | instskip(SKIP_3) | instid1(VALU_DEP_3)
	v_add_f64 v[8:9], v[14:15], v[8:9]
	v_fma_f64 v[14:15], v[243:244], s[2:3], v[144:145]
	v_dual_mov_b32 v142, v232 :: v_dual_mov_b32 v143, v233
	v_dual_mov_b32 v144, v234 :: v_dual_mov_b32 v145, v235
	v_add_f64 v[10:11], v[14:15], v[10:11]
	v_fma_f64 v[14:15], v[80:81], s[2:3], -v[146:147]
	s_delay_alu instid0(VALU_DEP_1) | instskip(SKIP_3) | instid1(VALU_DEP_4)
	v_add_f64 v[8:9], v[14:15], v[8:9]
	v_fma_f64 v[14:15], v[170:171], s[24:25], v[148:149]
	v_dual_mov_b32 v146, v156 :: v_dual_mov_b32 v147, v157
	v_dual_mov_b32 v148, v158 :: v_dual_mov_b32 v149, v159
	v_add_f64 v[8:9], v[18:19], v[8:9]
	s_delay_alu instid0(VALU_DEP_4)
	v_add_f64 v[10:11], v[14:15], v[10:11]
	s_clause 0x1
	scratch_load_b64 v[14:15], off, off offset:656
	scratch_load_b64 v[18:19], off, off offset:648
	s_waitcnt vmcnt(1)
	v_add_f64 v[12:13], v[12:13], v[14:15]
	v_fma_f64 v[14:15], v[166:167], s[28:29], -v[36:37]
	v_fma_f64 v[36:37], v[48:49], s[28:29], v[214:215]
	s_delay_alu instid0(VALU_DEP_3) | instskip(SKIP_1) | instid1(VALU_DEP_3)
	v_add_f64 v[12:13], v[16:17], v[12:13]
	s_waitcnt vmcnt(0)
	v_add_f64 v[14:15], v[14:15], v[18:19]
	v_fma_f64 v[16:17], v[44:45], s[22:23], -v[92:93]
	v_fma_f64 v[18:19], v[68:69], s[8:9], -v[128:129]
	s_delay_alu instid0(VALU_DEP_2) | instskip(SKIP_1) | instid1(VALU_DEP_1)
	v_add_f64 v[14:15], v[16:17], v[14:15]
	v_fma_f64 v[16:17], v[48:49], s[2:3], v[94:95]
	v_add_f64 v[12:13], v[16:17], v[12:13]
	v_fma_f64 v[16:17], v[241:242], s[2:3], -v[96:97]
	s_delay_alu instid0(VALU_DEP_1) | instskip(SKIP_1) | instid1(VALU_DEP_1)
	v_add_f64 v[14:15], v[16:17], v[14:15]
	v_fma_f64 v[16:17], v[245:246], s[10:11], v[98:99]
	v_add_f64 v[12:13], v[16:17], v[12:13]
	v_fma_f64 v[16:17], v[52:53], s[10:11], -v[100:101]
	s_delay_alu instid0(VALU_DEP_1) | instskip(SKIP_1) | instid1(VALU_DEP_1)
	;; [unrolled: 5-line block ×4, first 2 shown]
	v_add_f64 v[16:17], v[16:17], v[14:15]
	v_fma_f64 v[14:15], v[170:171], s[8:9], v[126:127]
	v_add_f64 v[14:15], v[14:15], v[12:13]
	s_delay_alu instid0(VALU_DEP_3) | instskip(SKIP_3) | instid1(VALU_DEP_1)
	v_add_f64 v[12:13], v[18:19], v[16:17]
	scratch_load_b64 v[18:19], off, off offset:624 ; 8-byte Folded Reload
	v_fma_f64 v[16:17], v[249:250], s[24:25], v[42:43]
	s_waitcnt vmcnt(0)
	v_add_f64 v[16:17], v[16:17], v[18:19]
	v_fma_f64 v[18:19], v[166:167], s[24:25], -v[32:33]
	s_delay_alu instid0(VALU_DEP_1) | instskip(SKIP_1) | instid1(VALU_DEP_1)
	v_add_f64 v[18:19], v[18:19], v[20:21]
	v_fma_f64 v[20:21], v[253:254], s[28:29], v[56:57]
	v_add_f64 v[16:17], v[20:21], v[16:17]
	v_fma_f64 v[20:21], v[44:45], s[28:29], -v[58:59]
	s_delay_alu instid0(VALU_DEP_1) | instskip(SKIP_1) | instid1(VALU_DEP_1)
	v_add_f64 v[18:19], v[20:21], v[18:19]
	v_fma_f64 v[20:21], v[48:49], s[22:23], v[60:61]
	;; [unrolled: 5-line block ×6, first 2 shown]
	v_add_f64 v[18:19], v[18:19], v[16:17]
	s_delay_alu instid0(VALU_DEP_3) | instskip(SKIP_3) | instid1(VALU_DEP_3)
	v_add_f64 v[16:17], v[22:23], v[20:21]
	v_fma_f64 v[20:21], v[249:250], s[20:21], v[196:197]
	v_fma_f64 v[22:23], v[166:167], s[20:21], -v[34:35]
	v_fma_f64 v[34:35], v[44:45], s[24:25], -v[202:203]
	v_add_f64 v[20:21], v[20:21], v[26:27]
	scratch_load_b64 v[26:27], off, off offset:584 ; 8-byte Folded Reload
	v_add_f64 v[20:21], v[24:25], v[20:21]
	v_fma_f64 v[24:25], v[241:242], s[28:29], -v[216:217]
	s_delay_alu instid0(VALU_DEP_2) | instskip(SKIP_3) | instid1(VALU_DEP_1)
	v_add_f64 v[20:21], v[36:37], v[20:21]
	v_fma_f64 v[36:37], v[52:53], s[26:27], -v[220:221]
	s_waitcnt vmcnt(0)
	v_add_f64 v[22:23], v[22:23], v[26:27]
	v_add_f64 v[22:23], v[34:35], v[22:23]
	v_fma_f64 v[34:35], v[245:246], s[26:27], v[218:219]
	s_delay_alu instid0(VALU_DEP_2) | instskip(SKIP_1) | instid1(VALU_DEP_3)
	v_add_f64 v[22:23], v[24:25], v[22:23]
	v_fma_f64 v[24:25], v[82:83], s[22:23], v[247:248]
	v_add_f64 v[20:21], v[34:35], v[20:21]
	v_fma_f64 v[34:35], v[54:55], s[22:23], -v[168:169]
	v_dual_mov_b32 v248, v209 :: v_dual_mov_b32 v247, v208
	v_add_f64 v[22:23], v[36:37], v[22:23]
	v_fma_f64 v[36:37], v[243:244], s[10:11], v[160:161]
	v_add_f64 v[20:21], v[24:25], v[20:21]
	v_fma_f64 v[24:25], v[80:81], s[10:11], -v[46:47]
	s_delay_alu instid0(VALU_DEP_4) | instskip(SKIP_1) | instid1(VALU_DEP_4)
	v_add_f64 v[22:23], v[34:35], v[22:23]
	v_fma_f64 v[34:35], v[170:171], s[2:3], v[50:51]
	v_add_f64 v[20:21], v[36:37], v[20:21]
	v_fma_f64 v[36:37], v[68:69], s[2:3], -v[40:41]
	s_delay_alu instid0(VALU_DEP_4) | instskip(NEXT) | instid1(VALU_DEP_3)
	v_add_f64 v[24:25], v[24:25], v[22:23]
	v_add_f64 v[22:23], v[34:35], v[20:21]
	s_delay_alu instid0(VALU_DEP_2) | instskip(SKIP_2) | instid1(VALU_DEP_1)
	v_add_f64 v[20:21], v[36:37], v[24:25]
	scratch_load_b128 v[25:28], off, off offset:552 ; 16-byte Folded Reload
	v_mul_lo_u16 v24, v248, 17
	v_and_b32_e32 v24, 0xffff, v24
	s_delay_alu instid0(VALU_DEP_1)
	v_lshlrev_b32_e32 v24, 4, v24
	s_waitcnt vmcnt(0)
	ds_store_b128 v24, v[25:28]
	ds_store_b128 v24, v[172:175] offset:16
	ds_store_b128 v24, v[176:179] offset:32
	;; [unrolled: 1-line block ×7, first 2 shown]
	scratch_load_b128 v[0:3], off, off offset:600 ; 16-byte Folded Reload
	s_waitcnt vmcnt(0)
	ds_store_b128 v24, v[0:3] offset:128
	scratch_load_b128 v[0:3], off, off offset:568 ; 16-byte Folded Reload
	s_waitcnt vmcnt(0)
	ds_store_b128 v24, v[0:3] offset:144
	scratch_load_b128 v[0:3], off, off offset:632 ; 16-byte Folded Reload
	s_waitcnt vmcnt(0)
	ds_store_b128 v24, v[0:3] offset:160
	ds_store_b128 v24, v[4:7] offset:176
	ds_store_b128 v24, v[8:11] offset:192
	ds_store_b128 v24, v[12:15] offset:208
	ds_store_b128 v24, v[16:19] offset:224
	ds_store_b128 v24, v[20:23] offset:240
	ds_store_b128 v24, v[228:231] offset:256
.LBB0_17:
	s_or_b32 exec_lo, exec_lo, s1
	s_waitcnt lgkmcnt(0)
	s_waitcnt_vscnt null, 0x0
	s_barrier
	buffer_gl0_inv
	ds_load_b128 v[0:3], v236 offset:6528
	ds_load_b128 v[4:7], v236 offset:7344
	;; [unrolled: 1-line block ×8, first 2 shown]
	s_clause 0x4
	scratch_load_b128 v[80:83], off, off offset:80
	scratch_load_b128 v[92:95], off, off offset:96
	;; [unrolled: 1-line block ×5, first 2 shown]
	s_waitcnt vmcnt(4) lgkmcnt(5)
	v_mul_f64 v[40:41], v[82:83], v[10:11]
	s_waitcnt vmcnt(3) lgkmcnt(4)
	v_mul_f64 v[44:45], v[94:95], v[14:15]
	v_mul_f64 v[46:47], v[94:95], v[12:13]
	scratch_load_b128 v[94:97], off, off offset:112 ; 16-byte Folded Reload
	s_waitcnt vmcnt(2)
	v_mul_f64 v[36:37], v[72:73], v[6:7]
	v_mul_f64 v[38:39], v[72:73], v[4:5]
	scratch_load_b128 v[72:75], off, off offset:48 ; 16-byte Folded Reload
	v_mul_f64 v[32:33], v[68:69], v[2:3]
	v_mul_f64 v[34:35], v[68:69], v[0:1]
	;; [unrolled: 1-line block ×3, first 2 shown]
	s_waitcnt vmcnt(2) lgkmcnt(1)
	v_mul_f64 v[56:57], v[78:79], v[26:27]
	v_mul_f64 v[58:59], v[78:79], v[24:25]
	v_fma_f64 v[8:9], v[80:81], v[8:9], v[40:41]
	v_fma_f64 v[40:41], v[92:93], v[12:13], v[44:45]
	;; [unrolled: 1-line block ×3, first 2 shown]
	v_fma_f64 v[70:71], v[70:71], v[6:7], -v[38:39]
	v_fma_f64 v[64:65], v[66:67], v[0:1], v[32:33]
	v_fma_f64 v[66:67], v[66:67], v[2:3], -v[34:35]
	v_fma_f64 v[10:11], v[80:81], v[10:11], -v[42:43]
	;; [unrolled: 1-line block ×3, first 2 shown]
	s_waitcnt vmcnt(1)
	v_mul_f64 v[48:49], v[96:97], v[18:19]
	v_mul_f64 v[50:51], v[96:97], v[16:17]
	scratch_load_b128 v[96:99], off, off offset:128 ; 16-byte Folded Reload
	s_waitcnt vmcnt(1) lgkmcnt(0)
	v_mul_f64 v[60:61], v[74:75], v[30:31]
	v_mul_f64 v[62:63], v[74:75], v[28:29]
	v_fma_f64 v[44:45], v[94:95], v[16:17], v[48:49]
	v_fma_f64 v[46:47], v[94:95], v[18:19], -v[50:51]
	s_waitcnt vmcnt(0)
	v_mul_f64 v[52:53], v[98:99], v[22:23]
	v_mul_f64 v[54:55], v[98:99], v[20:21]
	s_delay_alu instid0(VALU_DEP_2) | instskip(NEXT) | instid1(VALU_DEP_2)
	v_fma_f64 v[48:49], v[96:97], v[20:21], v[52:53]
	v_fma_f64 v[50:51], v[96:97], v[22:23], -v[54:55]
	v_fma_f64 v[52:53], v[76:77], v[24:25], v[56:57]
	v_fma_f64 v[54:55], v[76:77], v[26:27], -v[58:59]
	;; [unrolled: 2-line block ×3, first 2 shown]
	ds_load_b128 v[0:3], v236
	ds_load_b128 v[4:7], v236 offset:816
	ds_load_b128 v[12:15], v236 offset:1632
	;; [unrolled: 1-line block ×7, first 2 shown]
	s_waitcnt lgkmcnt(0)
	s_barrier
	buffer_gl0_inv
	v_add_f64 v[36:37], v[0:1], -v[64:65]
	v_add_f64 v[38:39], v[2:3], -v[66:67]
	;; [unrolled: 1-line block ×4, first 2 shown]
	scratch_load_b32 v40, off, off offset:172 ; 4-byte Folded Reload
	v_add_f64 v[82:83], v[6:7], -v[70:71]
	v_add_f64 v[156:157], v[12:13], -v[8:9]
	;; [unrolled: 1-line block ×12, first 2 shown]
	v_fma_f64 v[0:1], v[0:1], 2.0, -v[36:37]
	v_fma_f64 v[2:3], v[2:3], 2.0, -v[38:39]
	;; [unrolled: 1-line block ×4, first 2 shown]
	s_waitcnt vmcnt(0)
	ds_store_b128 v40, v[0:3]
	ds_store_b128 v40, v[36:39] offset:272
	scratch_load_b32 v0, off, off offset:168 ; 4-byte Folded Reload
	v_fma_f64 v[6:7], v[6:7], 2.0, -v[82:83]
	v_fma_f64 v[12:13], v[12:13], 2.0, -v[156:157]
	;; [unrolled: 1-line block ×12, first 2 shown]
	s_waitcnt vmcnt(0)
	ds_store_b128 v0, v[4:7]
	ds_store_b128 v0, v[80:83] offset:272
	scratch_load_b32 v0, off, off offset:164 ; 4-byte Folded Reload
	s_waitcnt vmcnt(0)
	ds_store_b128 v0, v[12:15]
	ds_store_b128 v0, v[156:159] offset:272
	scratch_load_b32 v0, off, off offset:160 ; 4-byte Folded Reload
	;; [unrolled: 4-line block ×6, first 2 shown]
	s_waitcnt vmcnt(0)
	ds_store_b128 v0, v[32:35]
	ds_store_b128 v0, v[8:11] offset:272
	s_waitcnt lgkmcnt(0)
	s_barrier
	buffer_gl0_inv
	ds_load_b128 v[16:19], v236
	ds_load_b128 v[12:15], v236 offset:816
	ds_load_b128 v[160:163], v236 offset:8704
	;; [unrolled: 1-line block ×14, first 2 shown]
	s_and_saveexec_b32 s1, s0
	s_cbranch_execz .LBB0_19
; %bb.18:
	ds_load_b128 v[8:11], v236 offset:4080
	ds_load_b128 v[228:231], v236 offset:8432
	;; [unrolled: 1-line block ×3, first 2 shown]
	s_waitcnt lgkmcnt(0)
	scratch_store_b128 off, v[0:3], off     ; 16-byte Folded Spill
.LBB0_19:
	s_or_b32 exec_lo, exec_lo, s1
	s_clause 0x3
	scratch_load_b128 v[76:79], off, off offset:204
	scratch_load_b128 v[72:75], off, off offset:188
	;; [unrolled: 1-line block ×4, first 2 shown]
	s_mov_b32 s2, 0xe8584caa
	s_mov_b32 s3, 0xbfebb67a
	;; [unrolled: 1-line block ×4, first 2 shown]
	s_clause 0x1
	scratch_load_b128 v[92:95], off, off offset:256
	scratch_load_b128 v[104:107], off, off offset:320
	s_waitcnt vmcnt(5) lgkmcnt(4)
	v_mul_f64 v[0:1], v[78:79], v[190:191]
	v_mul_f64 v[4:5], v[78:79], v[188:189]
	scratch_load_b128 v[78:81], off, off offset:224 ; 16-byte Folded Reload
	s_waitcnt vmcnt(5)
	v_mul_f64 v[2:3], v[74:75], v[162:163]
	v_mul_f64 v[6:7], v[74:75], v[160:161]
	s_waitcnt vmcnt(2)
	v_mul_f64 v[50:51], v[94:95], v[182:183]
	v_mul_f64 v[54:55], v[94:95], v[180:181]
	s_waitcnt vmcnt(1) lgkmcnt(1)
	v_mul_f64 v[64:65], v[106:107], v[174:175]
	v_mul_f64 v[68:69], v[106:107], v[172:173]
	v_fma_f64 v[0:1], v[76:77], v[188:189], v[0:1]
	v_fma_f64 v[4:5], v[76:77], v[190:191], -v[4:5]
	v_fma_f64 v[2:3], v[72:73], v[160:161], v[2:3]
	v_fma_f64 v[6:7], v[72:73], v[162:163], -v[6:7]
	s_delay_alu instid0(VALU_DEP_2) | instskip(NEXT) | instid1(VALU_DEP_2)
	v_add_f64 v[128:129], v[0:1], -v[2:3]
	v_add_f64 v[94:95], v[4:5], -v[6:7]
	s_waitcnt vmcnt(0)
	v_mul_f64 v[42:43], v[80:81], v[34:35]
	v_mul_f64 v[46:47], v[80:81], v[32:33]
	scratch_load_b128 v[80:83], off, off offset:240 ; 16-byte Folded Reload
	v_mul_f64 v[40:41], v[98:99], v[170:171]
	v_mul_f64 v[44:45], v[98:99], v[168:169]
	scratch_load_b128 v[98:101], off, off offset:288 ; 16-byte Folded Reload
	v_fma_f64 v[32:33], v[78:79], v[32:33], v[42:43]
	v_fma_f64 v[34:35], v[78:79], v[34:35], -v[46:47]
	v_fma_f64 v[46:47], v[92:93], v[182:183], -v[54:55]
	v_fma_f64 v[40:41], v[96:97], v[168:169], v[40:41]
	v_fma_f64 v[42:43], v[96:97], v[170:171], -v[44:45]
	v_fma_f64 v[44:45], v[92:93], v[180:181], v[50:51]
	v_add_f64 v[92:93], v[16:17], v[0:1]
	s_delay_alu instid0(VALU_DEP_4)
	v_add_f64 v[96:97], v[12:13], v[40:41]
	s_waitcnt vmcnt(1)
	v_mul_f64 v[58:59], v[82:83], v[158:159]
	v_mul_f64 v[62:63], v[82:83], v[156:157]
	s_waitcnt vmcnt(0)
	v_mul_f64 v[56:57], v[100:101], v[186:187]
	v_mul_f64 v[60:61], v[100:101], v[184:185]
	scratch_load_b128 v[100:103], off, off offset:304 ; 16-byte Folded Reload
	v_mul_f64 v[48:49], v[126:127], v[38:39]
	v_mul_f64 v[52:53], v[126:127], v[36:37]
	s_waitcnt vmcnt(0) lgkmcnt(0)
	s_waitcnt_vscnt null, 0x0
	s_barrier
	buffer_gl0_inv
	v_fma_f64 v[50:51], v[80:81], v[156:157], v[58:59]
	v_fma_f64 v[54:55], v[80:81], v[158:159], -v[62:63]
	v_fma_f64 v[36:37], v[124:125], v[36:37], v[48:49]
	v_fma_f64 v[48:49], v[98:99], v[184:185], v[56:57]
	;; [unrolled: 1-line block ×3, first 2 shown]
	v_add_f64 v[64:65], v[0:1], v[2:3]
	v_fma_f64 v[38:39], v[124:125], v[38:39], -v[52:53]
	v_fma_f64 v[52:53], v[98:99], v[186:187], -v[60:61]
	;; [unrolled: 1-line block ×3, first 2 shown]
	v_add_f64 v[0:1], v[92:93], v[2:3]
	v_add_f64 v[68:69], v[40:41], v[32:33]
	v_add_f64 v[98:99], v[14:15], v[42:43]
	v_add_f64 v[40:41], v[40:41], -v[32:33]
	v_add_f64 v[72:73], v[36:37], v[44:45]
	v_add_f64 v[132:133], v[36:37], -v[44:45]
	v_add_f64 v[124:125], v[24:25], v[56:57]
	v_fma_f64 v[64:65], v[64:65], -0.5, v[16:17]
	v_add_f64 v[74:75], v[38:39], v[46:47]
	v_add_f64 v[130:131], v[38:39], -v[46:47]
	v_add_f64 v[126:127], v[26:27], v[60:61]
	v_add_f64 v[76:77], v[48:49], v[50:51]
	v_fma_f64 v[68:69], v[68:69], -0.5, v[12:13]
	v_add_f64 v[78:79], v[52:53], v[54:55]
	v_add_f64 v[104:105], v[20:21], v[48:49]
	v_add_f64 v[106:107], v[22:23], v[52:53]
	v_add_f64 v[52:53], v[52:53], -v[54:55]
	v_add_f64 v[134:135], v[48:49], -v[50:51]
	v_fma_f64 v[72:73], v[72:73], -0.5, v[28:29]
	v_fma_f64 v[74:75], v[74:75], -0.5, v[30:31]
	;; [unrolled: 1-line block ×4, first 2 shown]
	v_add_f64 v[16:17], v[104:105], v[50:51]
	s_delay_alu instid0(VALU_DEP_3) | instskip(SKIP_1) | instid1(VALU_DEP_4)
	v_fma_f64 v[48:49], v[52:53], s[2:3], v[76:77]
	v_fma_f64 v[52:53], v[52:53], s[8:9], v[76:77]
	;; [unrolled: 1-line block ×3, first 2 shown]
	v_mul_f64 v[66:67], v[102:103], v[178:179]
	v_mul_f64 v[70:71], v[102:103], v[176:177]
	v_add_f64 v[102:103], v[30:31], v[38:39]
	s_delay_alu instid0(VALU_DEP_3) | instskip(NEXT) | instid1(VALU_DEP_3)
	v_fma_f64 v[58:59], v[100:101], v[176:177], v[66:67]
	v_fma_f64 v[62:63], v[100:101], v[178:179], -v[70:71]
	v_add_f64 v[100:101], v[28:29], v[36:37]
	v_fma_f64 v[28:29], v[94:95], s[8:9], v[64:65]
	v_add_f64 v[66:67], v[4:5], v[6:7]
	v_add_f64 v[4:5], v[18:19], v[4:5]
	v_add_f64 v[70:71], v[42:43], v[34:35]
	v_add_f64 v[42:43], v[42:43], -v[34:35]
	v_add_f64 v[80:81], v[56:57], v[58:59]
	v_add_f64 v[82:83], v[60:61], v[62:63]
	;; [unrolled: 1-line block ×3, first 2 shown]
	v_fma_f64 v[44:45], v[130:131], s[8:9], v[72:73]
	v_fma_f64 v[66:67], v[66:67], -0.5, v[18:19]
	v_add_f64 v[2:3], v[4:5], v[6:7]
	v_fma_f64 v[70:71], v[70:71], -0.5, v[14:15]
	v_add_f64 v[4:5], v[96:97], v[32:33]
	v_add_f64 v[6:7], v[98:99], v[34:35]
	v_fma_f64 v[32:33], v[42:43], s[2:3], v[68:69]
	v_fma_f64 v[36:37], v[42:43], s[8:9], v[68:69]
	v_add_f64 v[14:15], v[102:103], v[46:47]
	v_fma_f64 v[42:43], v[132:133], s[8:9], v[74:75]
	v_fma_f64 v[46:47], v[132:133], s[2:3], v[74:75]
	v_add_f64 v[18:19], v[106:107], v[54:55]
	v_fma_f64 v[54:55], v[134:135], s[2:3], v[78:79]
	v_add_f64 v[60:61], v[60:61], -v[62:63]
	v_add_f64 v[136:137], v[56:57], -v[58:59]
	v_add_f64 v[20:21], v[124:125], v[58:59]
	v_add_f64 v[22:23], v[126:127], v[62:63]
	v_fma_f64 v[80:81], v[80:81], -0.5, v[24:25]
	v_fma_f64 v[24:25], v[94:95], s[2:3], v[64:65]
	scratch_load_b32 v64, off, off offset:372 ; 4-byte Folded Reload
	v_fma_f64 v[82:83], v[82:83], -0.5, v[26:27]
	v_fma_f64 v[26:27], v[128:129], s[8:9], v[66:67]
	v_fma_f64 v[30:31], v[128:129], s[2:3], v[66:67]
	;; [unrolled: 1-line block ×5, first 2 shown]
	s_waitcnt vmcnt(0)
	ds_store_b128 v64, v[0:3]
	ds_store_b128 v64, v[24:27] offset:544
	ds_store_b128 v64, v[28:31] offset:1088
	scratch_load_b32 v0, off, off offset:368 ; 4-byte Folded Reload
	v_fma_f64 v[56:57], v[60:61], s[2:3], v[80:81]
	v_fma_f64 v[58:59], v[136:137], s[8:9], v[82:83]
	;; [unrolled: 1-line block ×4, first 2 shown]
	s_waitcnt vmcnt(0)
	ds_store_b128 v0, v[4:7]
	ds_store_b128 v0, v[32:35] offset:544
	ds_store_b128 v0, v[36:39] offset:1088
	scratch_load_b32 v0, off, off offset:364 ; 4-byte Folded Reload
	s_waitcnt vmcnt(0)
	ds_store_b128 v0, v[12:15]
	ds_store_b128 v0, v[40:43] offset:544
	ds_store_b128 v0, v[44:47] offset:1088
	scratch_load_b32 v0, off, off offset:360 ; 4-byte Folded Reload
	;; [unrolled: 5-line block ×3, first 2 shown]
	s_waitcnt vmcnt(0)
	ds_store_b128 v0, v[20:23]
	ds_store_b128 v0, v[56:59] offset:544
	ds_store_b128 v0, v[60:63] offset:1088
	s_and_saveexec_b32 s1, s0
	s_cbranch_execz .LBB0_21
; %bb.20:
	s_clause 0x2
	scratch_load_b128 v[16:19], off, off offset:536
	scratch_load_b128 v[12:15], off, off offset:520
	scratch_load_b128 v[20:23], off, off
	s_waitcnt vmcnt(2)
	v_mul_f64 v[0:1], v[18:19], v[228:229]
	s_waitcnt vmcnt(0)
	v_mul_f64 v[2:3], v[14:15], v[20:21]
	v_mul_f64 v[4:5], v[18:19], v[230:231]
	;; [unrolled: 1-line block ×3, first 2 shown]
	s_delay_alu instid0(VALU_DEP_4) | instskip(NEXT) | instid1(VALU_DEP_4)
	v_fma_f64 v[0:1], v[16:17], v[230:231], -v[0:1]
	v_fma_f64 v[2:3], v[12:13], v[22:23], -v[2:3]
	s_delay_alu instid0(VALU_DEP_4) | instskip(NEXT) | instid1(VALU_DEP_4)
	v_fma_f64 v[4:5], v[16:17], v[228:229], v[4:5]
	v_fma_f64 v[6:7], v[12:13], v[20:21], v[6:7]
	s_delay_alu instid0(VALU_DEP_4) | instskip(NEXT) | instid1(VALU_DEP_4)
	v_add_f64 v[18:19], v[10:11], v[0:1]
	v_add_f64 v[12:13], v[0:1], v[2:3]
	s_delay_alu instid0(VALU_DEP_3) | instskip(SKIP_2) | instid1(VALU_DEP_4)
	v_add_f64 v[14:15], v[4:5], v[6:7]
	v_add_f64 v[16:17], v[4:5], -v[6:7]
	v_add_f64 v[4:5], v[8:9], v[4:5]
	v_fma_f64 v[10:11], v[12:13], -0.5, v[10:11]
	v_add_f64 v[12:13], v[0:1], -v[2:3]
	v_fma_f64 v[14:15], v[14:15], -0.5, v[8:9]
	v_add_f64 v[2:3], v[18:19], v[2:3]
	v_add_f64 v[0:1], v[4:5], v[6:7]
	v_fma_f64 v[6:7], v[16:17], s[2:3], v[10:11]
	v_fma_f64 v[10:11], v[16:17], s[8:9], v[10:11]
	;; [unrolled: 1-line block ×4, first 2 shown]
	scratch_load_b32 v12, off, off offset:352 ; 4-byte Folded Reload
	s_waitcnt vmcnt(0)
	v_lshlrev_b32_e32 v12, 4, v12
	ds_store_b128 v12, v[0:3] offset:11424
	ds_store_b128 v12, v[8:11] offset:11968
	;; [unrolled: 1-line block ×3, first 2 shown]
.LBB0_21:
	s_or_b32 exec_lo, exec_lo, s1
	s_waitcnt lgkmcnt(0)
	s_barrier
	buffer_gl0_inv
	ds_load_b128 v[0:3], v236 offset:6528
	ds_load_b128 v[4:7], v236 offset:7344
	;; [unrolled: 1-line block ×8, first 2 shown]
	s_clause 0x2
	scratch_load_b128 v[72:75], off, off offset:408
	scratch_load_b128 v[68:71], off, off offset:392
	;; [unrolled: 1-line block ×3, first 2 shown]
	s_waitcnt lgkmcnt(7)
	v_mul_f64 v[32:33], v[90:91], v[2:3]
	v_mul_f64 v[34:35], v[90:91], v[0:1]
	s_waitcnt lgkmcnt(6)
	v_mul_f64 v[36:37], v[86:87], v[6:7]
	v_mul_f64 v[38:39], v[86:87], v[4:5]
	;; [unrolled: 3-line block ×4, first 2 shown]
	v_fma_f64 v[32:33], v[88:89], v[0:1], v[32:33]
	v_fma_f64 v[34:35], v[88:89], v[2:3], -v[34:35]
	v_fma_f64 v[36:37], v[84:85], v[4:5], v[36:37]
	v_fma_f64 v[38:39], v[84:85], v[6:7], -v[38:39]
	;; [unrolled: 2-line block ×4, first 2 shown]
	s_waitcnt vmcnt(2) lgkmcnt(3)
	v_mul_f64 v[48:49], v[74:75], v[18:19]
	v_mul_f64 v[50:51], v[74:75], v[16:17]
	scratch_load_b128 v[74:77], off, off offset:424 ; 16-byte Folded Reload
	s_waitcnt vmcnt(2) lgkmcnt(1)
	v_mul_f64 v[56:57], v[70:71], v[26:27]
	v_mul_f64 v[58:59], v[70:71], v[24:25]
	s_waitcnt vmcnt(1) lgkmcnt(0)
	v_mul_f64 v[60:61], v[66:67], v[30:31]
	v_mul_f64 v[62:63], v[66:67], v[28:29]
	v_fma_f64 v[48:49], v[72:73], v[16:17], v[48:49]
	v_fma_f64 v[50:51], v[72:73], v[18:19], -v[50:51]
	v_fma_f64 v[56:57], v[68:69], v[24:25], v[56:57]
	v_fma_f64 v[58:59], v[68:69], v[26:27], -v[58:59]
	;; [unrolled: 2-line block ×3, first 2 shown]
	s_waitcnt vmcnt(0)
	v_mul_f64 v[52:53], v[76:77], v[22:23]
	v_mul_f64 v[54:55], v[76:77], v[20:21]
	s_delay_alu instid0(VALU_DEP_2) | instskip(NEXT) | instid1(VALU_DEP_2)
	v_fma_f64 v[52:53], v[74:75], v[20:21], v[52:53]
	v_fma_f64 v[54:55], v[74:75], v[22:23], -v[54:55]
	ds_load_b128 v[0:3], v236
	ds_load_b128 v[4:7], v236 offset:816
	ds_load_b128 v[8:11], v236 offset:1632
	;; [unrolled: 1-line block ×7, first 2 shown]
	s_waitcnt lgkmcnt(0)
	s_barrier
	buffer_gl0_inv
	v_add_f64 v[32:33], v[0:1], -v[32:33]
	v_add_f64 v[34:35], v[2:3], -v[34:35]
	;; [unrolled: 1-line block ×16, first 2 shown]
	v_fma_f64 v[0:1], v[0:1], 2.0, -v[32:33]
	v_fma_f64 v[2:3], v[2:3], 2.0, -v[34:35]
	;; [unrolled: 1-line block ×14, first 2 shown]
	ds_store_b128 v236, v[32:35] offset:1632
	ds_store_b128 v236, v[36:39] offset:2448
	;; [unrolled: 1-line block ×4, first 2 shown]
	ds_store_b128 v236, v[0:3]
	ds_store_b128 v236, v[4:7] offset:816
	ds_store_b128 v236, v[8:11] offset:3264
	;; [unrolled: 1-line block ×3, first 2 shown]
	scratch_load_b32 v0, off, off offset:220 ; 4-byte Folded Reload
	v_fma_f64 v[20:21], v[20:21], 2.0, -v[52:53]
	v_fma_f64 v[22:23], v[22:23], 2.0, -v[54:55]
	s_waitcnt vmcnt(0)
	ds_store_b128 v0, v[16:19] offset:6528
	ds_store_b128 v0, v[48:51] offset:8160
	scratch_load_b32 v0, off, off offset:184 ; 4-byte Folded Reload
	s_waitcnt vmcnt(0)
	ds_store_b128 v0, v[20:23] offset:6528
	ds_store_b128 v0, v[52:55] offset:8160
	scratch_load_b32 v0, off, off offset:180 ; 4-byte Folded Reload
	;; [unrolled: 4-line block ×3, first 2 shown]
	s_waitcnt vmcnt(0)
	ds_store_b128 v0, v[28:31] offset:9792
	ds_store_b128 v0, v[60:63] offset:11424
	s_waitcnt lgkmcnt(0)
	s_barrier
	buffer_gl0_inv
	ds_load_b128 v[0:3], v236 offset:6528
	ds_load_b128 v[4:7], v236 offset:7344
	;; [unrolled: 1-line block ×8, first 2 shown]
	s_waitcnt lgkmcnt(7)
	v_mul_f64 v[32:33], v[114:115], v[2:3]
	v_mul_f64 v[34:35], v[114:115], v[0:1]
	s_waitcnt lgkmcnt(6)
	v_mul_f64 v[36:37], v[110:111], v[6:7]
	v_mul_f64 v[38:39], v[110:111], v[4:5]
	;; [unrolled: 3-line block ×8, first 2 shown]
	v_fma_f64 v[32:33], v[112:113], v[0:1], v[32:33]
	v_fma_f64 v[34:35], v[112:113], v[2:3], -v[34:35]
	v_fma_f64 v[36:37], v[108:109], v[4:5], v[36:37]
	v_fma_f64 v[38:39], v[108:109], v[6:7], -v[38:39]
	;; [unrolled: 2-line block ×8, first 2 shown]
	ds_load_b128 v[0:3], v236
	ds_load_b128 v[4:7], v236 offset:816
	ds_load_b128 v[8:11], v236 offset:1632
	;; [unrolled: 1-line block ×7, first 2 shown]
	s_waitcnt lgkmcnt(0)
	s_barrier
	buffer_gl0_inv
	v_add_f64 v[32:33], v[0:1], -v[32:33]
	v_add_f64 v[34:35], v[2:3], -v[34:35]
	;; [unrolled: 1-line block ×16, first 2 shown]
	v_fma_f64 v[0:1], v[0:1], 2.0, -v[32:33]
	v_fma_f64 v[2:3], v[2:3], 2.0, -v[34:35]
	;; [unrolled: 1-line block ×16, first 2 shown]
	ds_store_b128 v236, v[32:35] offset:3264
	ds_store_b128 v236, v[36:39] offset:4080
	;; [unrolled: 1-line block ×8, first 2 shown]
	ds_store_b128 v236, v[0:3]
	ds_store_b128 v236, v[4:7] offset:816
	ds_store_b128 v236, v[8:11] offset:1632
	;; [unrolled: 1-line block ×7, first 2 shown]
	s_waitcnt lgkmcnt(0)
	s_barrier
	buffer_gl0_inv
	ds_load_b128 v[0:3], v236 offset:6528
	ds_load_b128 v[4:7], v236 offset:7344
	;; [unrolled: 1-line block ×8, first 2 shown]
	scratch_load_b128 v[64:67], off, off offset:440 ; 16-byte Folded Reload
	s_waitcnt lgkmcnt(7)
	v_mul_f64 v[32:33], v[140:141], v[2:3]
	v_mul_f64 v[34:35], v[140:141], v[0:1]
	s_waitcnt lgkmcnt(6)
	v_mul_f64 v[36:37], v[148:149], v[6:7]
	v_mul_f64 v[38:39], v[148:149], v[4:5]
	;; [unrolled: 3-line block ×4, first 2 shown]
	v_fma_f64 v[32:33], v[138:139], v[0:1], v[32:33]
	v_fma_f64 v[34:35], v[138:139], v[2:3], -v[34:35]
	v_fma_f64 v[36:37], v[146:147], v[4:5], v[36:37]
	v_fma_f64 v[38:39], v[146:147], v[6:7], -v[38:39]
	;; [unrolled: 2-line block ×4, first 2 shown]
	s_waitcnt vmcnt(0) lgkmcnt(3)
	v_mul_f64 v[48:49], v[66:67], v[18:19]
	v_mul_f64 v[50:51], v[66:67], v[16:17]
	scratch_load_b128 v[66:69], off, off offset:456 ; 16-byte Folded Reload
	v_fma_f64 v[48:49], v[64:65], v[16:17], v[48:49]
	v_fma_f64 v[50:51], v[64:65], v[18:19], -v[50:51]
	s_waitcnt vmcnt(0) lgkmcnt(2)
	v_mul_f64 v[52:53], v[68:69], v[22:23]
	v_mul_f64 v[54:55], v[68:69], v[20:21]
	scratch_load_b128 v[68:71], off, off offset:472 ; 16-byte Folded Reload
	v_fma_f64 v[52:53], v[66:67], v[20:21], v[52:53]
	v_fma_f64 v[54:55], v[66:67], v[22:23], -v[54:55]
	;; [unrolled: 6-line block ×3, first 2 shown]
	s_waitcnt vmcnt(0) lgkmcnt(0)
	v_mul_f64 v[60:61], v[72:73], v[30:31]
	v_mul_f64 v[62:63], v[72:73], v[28:29]
	s_delay_alu instid0(VALU_DEP_2) | instskip(NEXT) | instid1(VALU_DEP_2)
	v_fma_f64 v[60:61], v[70:71], v[28:29], v[60:61]
	v_fma_f64 v[62:63], v[70:71], v[30:31], -v[62:63]
	ds_load_b128 v[0:3], v236
	ds_load_b128 v[4:7], v236 offset:816
	ds_load_b128 v[8:11], v236 offset:1632
	;; [unrolled: 1-line block ×7, first 2 shown]
	s_waitcnt lgkmcnt(7)
	v_add_f64 v[32:33], v[0:1], -v[32:33]
	v_add_f64 v[34:35], v[2:3], -v[34:35]
	s_waitcnt lgkmcnt(6)
	v_add_f64 v[36:37], v[4:5], -v[36:37]
	v_add_f64 v[38:39], v[6:7], -v[38:39]
	;; [unrolled: 3-line block ×8, first 2 shown]
	v_fma_f64 v[0:1], v[0:1], 2.0, -v[32:33]
	v_fma_f64 v[2:3], v[2:3], 2.0, -v[34:35]
	;; [unrolled: 1-line block ×16, first 2 shown]
	ds_store_b128 v236, v[32:35] offset:6528
	ds_store_b128 v236, v[36:39] offset:7344
	;; [unrolled: 1-line block ×8, first 2 shown]
	ds_store_b128 v236, v[0:3]
	ds_store_b128 v236, v[4:7] offset:816
	ds_store_b128 v236, v[8:11] offset:1632
	ds_store_b128 v236, v[12:15] offset:2448
	ds_store_b128 v236, v[16:19] offset:3264
	ds_store_b128 v236, v[20:23] offset:4080
	ds_store_b128 v236, v[24:27] offset:4896
	ds_store_b128 v236, v[28:31] offset:5712
	s_waitcnt lgkmcnt(0)
	s_barrier
	buffer_gl0_inv
	s_and_b32 exec_lo, exec_lo, vcc_lo
	s_cbranch_execz .LBB0_23
; %bb.22:
	global_load_b128 v[0:3], v255, s[12:13]
	ds_load_b128 v[4:7], v236
	ds_load_b128 v[8:11], v255 offset:768
	ds_load_b128 v[12:15], v255 offset:12288
	s_mov_b32 s0, 0x14141414
	s_mov_b32 s1, 0x3f541414
	s_mul_i32 s2, s5, 0x300
	s_mul_hi_u32 s3, s4, 0x300
	s_mul_i32 s8, s4, 0x600
	s_add_i32 s3, s3, s2
	v_add_co_u32 v24, s2, s12, v255
	s_delay_alu instid0(VALU_DEP_1) | instskip(SKIP_4) | instid1(VALU_DEP_2)
	v_add_co_ci_u32_e64 v25, null, s13, 0, s2
	s_mul_i32 s2, s5, 0x600
	s_waitcnt vmcnt(0) lgkmcnt(2)
	v_mul_f64 v[16:17], v[6:7], v[2:3]
	v_mul_f64 v[2:3], v[4:5], v[2:3]
	v_fma_f64 v[4:5], v[4:5], v[0:1], v[16:17]
	s_delay_alu instid0(VALU_DEP_2) | instskip(SKIP_3) | instid1(VALU_DEP_4)
	v_fma_f64 v[2:3], v[0:1], v[6:7], -v[2:3]
	v_mad_u64_u32 v[6:7], null, s6, v247, 0
	v_mad_u64_u32 v[16:17], null, s4, v248, 0
	s_mul_i32 s6, s4, 0x300
	v_mul_f64 v[0:1], v[4:5], s[0:1]
	s_delay_alu instid0(VALU_DEP_4) | instskip(NEXT) | instid1(VALU_DEP_3)
	v_mul_f64 v[2:3], v[2:3], s[0:1]
	v_dual_mov_b32 v4, v7 :: v_dual_mov_b32 v5, v17
	s_delay_alu instid0(VALU_DEP_1) | instskip(SKIP_2) | instid1(SALU_CYCLE_1)
	v_mad_u64_u32 v[17:18], null, s7, v247, v[4:5]
	v_mad_u64_u32 v[18:19], null, s5, v248, v[5:6]
	s_mul_hi_u32 s7, s4, 0x600
	s_add_i32 s7, s7, s2
	s_delay_alu instid0(VALU_DEP_2) | instskip(NEXT) | instid1(VALU_DEP_2)
	v_mov_b32_e32 v7, v17
	v_mov_b32_e32 v17, v18
	s_delay_alu instid0(VALU_DEP_2) | instskip(NEXT) | instid1(VALU_DEP_2)
	v_lshlrev_b64 v[4:5], 4, v[6:7]
	v_lshlrev_b64 v[6:7], 4, v[16:17]
	s_delay_alu instid0(VALU_DEP_2) | instskip(NEXT) | instid1(VALU_DEP_3)
	v_add_co_u32 v22, vcc_lo, s14, v4
	v_add_co_ci_u32_e32 v23, vcc_lo, s15, v5, vcc_lo
	s_delay_alu instid0(VALU_DEP_2) | instskip(NEXT) | instid1(VALU_DEP_2)
	v_add_co_u32 v4, vcc_lo, v22, v6
	v_add_co_ci_u32_e32 v5, vcc_lo, v23, v7, vcc_lo
	s_delay_alu instid0(VALU_DEP_2)
	v_add_co_u32 v16, vcc_lo, v4, s6
	global_store_b128 v[4:5], v[0:3], off
	global_load_b128 v[0:3], v255, s[12:13] offset:768
	v_add_co_ci_u32_e32 v17, vcc_lo, s3, v5, vcc_lo
	s_waitcnt vmcnt(0) lgkmcnt(1)
	v_mul_f64 v[6:7], v[10:11], v[2:3]
	v_mul_f64 v[2:3], v[8:9], v[2:3]
	s_delay_alu instid0(VALU_DEP_2) | instskip(NEXT) | instid1(VALU_DEP_2)
	v_fma_f64 v[6:7], v[8:9], v[0:1], v[6:7]
	v_fma_f64 v[2:3], v[0:1], v[10:11], -v[2:3]
	s_delay_alu instid0(VALU_DEP_2) | instskip(NEXT) | instid1(VALU_DEP_2)
	v_mul_f64 v[0:1], v[6:7], s[0:1]
	v_mul_f64 v[2:3], v[2:3], s[0:1]
	global_store_b128 v[16:17], v[0:3], off
	global_load_b128 v[0:3], v255, s[12:13] offset:1536
	ds_load_b128 v[4:7], v255 offset:1536
	ds_load_b128 v[8:11], v255 offset:2304
	s_waitcnt vmcnt(0) lgkmcnt(1)
	v_mul_f64 v[18:19], v[6:7], v[2:3]
	v_mul_f64 v[2:3], v[4:5], v[2:3]
	s_delay_alu instid0(VALU_DEP_2) | instskip(NEXT) | instid1(VALU_DEP_2)
	v_fma_f64 v[4:5], v[4:5], v[0:1], v[18:19]
	v_fma_f64 v[2:3], v[0:1], v[6:7], -v[2:3]
	s_delay_alu instid0(VALU_DEP_2) | instskip(NEXT) | instid1(VALU_DEP_2)
	v_mul_f64 v[0:1], v[4:5], s[0:1]
	v_mul_f64 v[2:3], v[2:3], s[0:1]
	v_add_co_u32 v4, vcc_lo, v16, s6
	v_add_co_ci_u32_e32 v5, vcc_lo, s3, v17, vcc_lo
	s_delay_alu instid0(VALU_DEP_2) | instskip(NEXT) | instid1(VALU_DEP_2)
	v_add_co_u32 v16, vcc_lo, v4, s6
	v_add_co_ci_u32_e32 v17, vcc_lo, s3, v5, vcc_lo
	global_store_b128 v[4:5], v[0:3], off
	global_load_b128 v[0:3], v255, s[12:13] offset:2304
	s_waitcnt vmcnt(0) lgkmcnt(0)
	v_mul_f64 v[6:7], v[10:11], v[2:3]
	v_mul_f64 v[2:3], v[8:9], v[2:3]
	s_delay_alu instid0(VALU_DEP_2) | instskip(NEXT) | instid1(VALU_DEP_2)
	v_fma_f64 v[6:7], v[8:9], v[0:1], v[6:7]
	v_fma_f64 v[2:3], v[0:1], v[10:11], -v[2:3]
	s_delay_alu instid0(VALU_DEP_2) | instskip(NEXT) | instid1(VALU_DEP_2)
	v_mul_f64 v[0:1], v[6:7], s[0:1]
	v_mul_f64 v[2:3], v[2:3], s[0:1]
	global_store_b128 v[16:17], v[0:3], off
	global_load_b128 v[0:3], v255, s[12:13] offset:3072
	ds_load_b128 v[4:7], v255 offset:3072
	ds_load_b128 v[8:11], v255 offset:3840
	scratch_load_b32 v20, off, off offset:516 ; 4-byte Folded Reload
	s_waitcnt vmcnt(1) lgkmcnt(1)
	v_mul_f64 v[18:19], v[6:7], v[2:3]
	v_mul_f64 v[2:3], v[4:5], v[2:3]
	s_delay_alu instid0(VALU_DEP_2) | instskip(NEXT) | instid1(VALU_DEP_2)
	v_fma_f64 v[4:5], v[4:5], v[0:1], v[18:19]
	v_fma_f64 v[2:3], v[0:1], v[6:7], -v[2:3]
	s_waitcnt vmcnt(0)
	v_mad_u64_u32 v[6:7], null, s4, v20, 0
	s_delay_alu instid0(VALU_DEP_3) | instskip(NEXT) | instid1(VALU_DEP_2)
	v_mul_f64 v[0:1], v[4:5], s[0:1]
	v_mov_b32_e32 v4, v7
	s_delay_alu instid0(VALU_DEP_4) | instskip(NEXT) | instid1(VALU_DEP_2)
	v_mul_f64 v[2:3], v[2:3], s[0:1]
	v_mad_u64_u32 v[18:19], null, s5, v20, v[4:5]
	s_delay_alu instid0(VALU_DEP_1) | instskip(NEXT) | instid1(VALU_DEP_1)
	v_mov_b32_e32 v7, v18
	v_lshlrev_b64 v[4:5], 4, v[6:7]
	s_delay_alu instid0(VALU_DEP_1) | instskip(NEXT) | instid1(VALU_DEP_2)
	v_add_co_u32 v4, vcc_lo, v22, v4
	v_add_co_ci_u32_e32 v5, vcc_lo, v23, v5, vcc_lo
	v_add_co_u32 v16, vcc_lo, v16, s8
	v_add_co_ci_u32_e32 v17, vcc_lo, s7, v17, vcc_lo
	;; [unrolled: 2-line block ×3, first 2 shown]
	global_store_b128 v[4:5], v[0:3], off
	global_load_b128 v[0:3], v255, s[12:13] offset:3840
	s_waitcnt vmcnt(0) lgkmcnt(0)
	v_mul_f64 v[4:5], v[10:11], v[2:3]
	v_mul_f64 v[2:3], v[8:9], v[2:3]
	s_delay_alu instid0(VALU_DEP_2) | instskip(NEXT) | instid1(VALU_DEP_2)
	v_fma_f64 v[4:5], v[8:9], v[0:1], v[4:5]
	v_fma_f64 v[2:3], v[0:1], v[10:11], -v[2:3]
	s_delay_alu instid0(VALU_DEP_2) | instskip(NEXT) | instid1(VALU_DEP_2)
	v_mul_f64 v[0:1], v[4:5], s[0:1]
	v_mul_f64 v[2:3], v[2:3], s[0:1]
	global_store_b128 v[16:17], v[0:3], off
	global_load_b128 v[0:3], v[18:19], off offset:512
	ds_load_b128 v[4:7], v255 offset:4608
	ds_load_b128 v[8:11], v255 offset:5376
	scratch_load_b32 v26, off, off offset:512 ; 4-byte Folded Reload
	s_waitcnt vmcnt(1) lgkmcnt(1)
	v_mul_f64 v[20:21], v[6:7], v[2:3]
	v_mul_f64 v[2:3], v[4:5], v[2:3]
	s_delay_alu instid0(VALU_DEP_2) | instskip(NEXT) | instid1(VALU_DEP_2)
	v_fma_f64 v[4:5], v[4:5], v[0:1], v[20:21]
	v_fma_f64 v[2:3], v[0:1], v[6:7], -v[2:3]
	s_delay_alu instid0(VALU_DEP_2) | instskip(NEXT) | instid1(VALU_DEP_2)
	v_mul_f64 v[0:1], v[4:5], s[0:1]
	v_mul_f64 v[2:3], v[2:3], s[0:1]
	v_add_co_u32 v4, vcc_lo, v16, s6
	v_add_co_ci_u32_e32 v5, vcc_lo, s3, v17, vcc_lo
	s_delay_alu instid0(VALU_DEP_2) | instskip(NEXT) | instid1(VALU_DEP_2)
	v_add_co_u32 v16, vcc_lo, v4, s6
	v_add_co_ci_u32_e32 v17, vcc_lo, s3, v5, vcc_lo
	global_store_b128 v[4:5], v[0:3], off
	global_load_b128 v[0:3], v[18:19], off offset:1280
	s_waitcnt vmcnt(1)
	v_lshlrev_b32_e32 v4, 4, v26
	s_waitcnt vmcnt(0) lgkmcnt(0)
	v_mul_f64 v[6:7], v[10:11], v[2:3]
	v_mul_f64 v[2:3], v[8:9], v[2:3]
	s_delay_alu instid0(VALU_DEP_2) | instskip(NEXT) | instid1(VALU_DEP_2)
	v_fma_f64 v[6:7], v[8:9], v[0:1], v[6:7]
	v_fma_f64 v[2:3], v[0:1], v[10:11], -v[2:3]
	s_delay_alu instid0(VALU_DEP_2) | instskip(NEXT) | instid1(VALU_DEP_2)
	v_mul_f64 v[0:1], v[6:7], s[0:1]
	v_mul_f64 v[2:3], v[2:3], s[0:1]
	global_store_b128 v[16:17], v[0:3], off
	global_load_b128 v[0:3], v4, s[12:13]
	ds_load_b128 v[4:7], v255 offset:6144
	ds_load_b128 v[8:11], v255 offset:6912
	s_waitcnt vmcnt(0) lgkmcnt(1)
	v_mul_f64 v[20:21], v[6:7], v[2:3]
	v_mul_f64 v[2:3], v[4:5], v[2:3]
	s_delay_alu instid0(VALU_DEP_2) | instskip(NEXT) | instid1(VALU_DEP_2)
	v_fma_f64 v[4:5], v[4:5], v[0:1], v[20:21]
	v_fma_f64 v[2:3], v[0:1], v[6:7], -v[2:3]
	v_mad_u64_u32 v[6:7], null, s4, v26, 0
	s_delay_alu instid0(VALU_DEP_3) | instskip(NEXT) | instid1(VALU_DEP_3)
	v_mul_f64 v[0:1], v[4:5], s[0:1]
	v_mul_f64 v[2:3], v[2:3], s[0:1]
	s_delay_alu instid0(VALU_DEP_3) | instskip(NEXT) | instid1(VALU_DEP_1)
	v_mov_b32_e32 v4, v7
	v_mad_u64_u32 v[20:21], null, s5, v26, v[4:5]
	s_delay_alu instid0(VALU_DEP_1) | instskip(NEXT) | instid1(VALU_DEP_1)
	v_mov_b32_e32 v7, v20
	v_lshlrev_b64 v[4:5], 4, v[6:7]
	s_delay_alu instid0(VALU_DEP_1) | instskip(NEXT) | instid1(VALU_DEP_2)
	v_add_co_u32 v4, vcc_lo, v22, v4
	v_add_co_ci_u32_e32 v5, vcc_lo, v23, v5, vcc_lo
	v_add_co_u32 v16, vcc_lo, v16, s8
	v_add_co_ci_u32_e32 v17, vcc_lo, s7, v17, vcc_lo
	global_store_b128 v[4:5], v[0:3], off
	global_load_b128 v[0:3], v[18:19], off offset:2816
	s_waitcnt vmcnt(0) lgkmcnt(0)
	v_mul_f64 v[4:5], v[10:11], v[2:3]
	v_mul_f64 v[2:3], v[8:9], v[2:3]
	s_delay_alu instid0(VALU_DEP_2) | instskip(NEXT) | instid1(VALU_DEP_2)
	v_fma_f64 v[4:5], v[8:9], v[0:1], v[4:5]
	v_fma_f64 v[2:3], v[0:1], v[10:11], -v[2:3]
	s_delay_alu instid0(VALU_DEP_2) | instskip(NEXT) | instid1(VALU_DEP_2)
	v_mul_f64 v[0:1], v[4:5], s[0:1]
	v_mul_f64 v[2:3], v[2:3], s[0:1]
	global_store_b128 v[16:17], v[0:3], off
	global_load_b128 v[0:3], v[18:19], off offset:3584
	ds_load_b128 v[4:7], v255 offset:7680
	ds_load_b128 v[8:11], v255 offset:8448
	s_waitcnt vmcnt(0) lgkmcnt(1)
	v_mul_f64 v[18:19], v[6:7], v[2:3]
	v_mul_f64 v[2:3], v[4:5], v[2:3]
	s_delay_alu instid0(VALU_DEP_2) | instskip(NEXT) | instid1(VALU_DEP_2)
	v_fma_f64 v[4:5], v[4:5], v[0:1], v[18:19]
	v_fma_f64 v[2:3], v[0:1], v[6:7], -v[2:3]
	s_delay_alu instid0(VALU_DEP_2) | instskip(NEXT) | instid1(VALU_DEP_2)
	v_mul_f64 v[0:1], v[4:5], s[0:1]
	v_mul_f64 v[2:3], v[2:3], s[0:1]
	v_add_co_u32 v4, vcc_lo, v16, s6
	v_add_co_ci_u32_e32 v5, vcc_lo, s3, v17, vcc_lo
	v_add_co_u32 v16, vcc_lo, 0x2000, v24
	v_add_co_ci_u32_e32 v17, vcc_lo, 0, v25, vcc_lo
	scratch_load_b32 v24, off, off offset:508 ; 4-byte Folded Reload
	v_add_co_u32 v18, vcc_lo, v4, s6
	v_add_co_ci_u32_e32 v19, vcc_lo, s3, v5, vcc_lo
	global_store_b128 v[4:5], v[0:3], off
	global_load_b128 v[0:3], v[16:17], off offset:256
	s_waitcnt vmcnt(1)
	v_lshlrev_b32_e32 v4, 4, v24
	s_waitcnt vmcnt(0) lgkmcnt(0)
	v_mul_f64 v[6:7], v[10:11], v[2:3]
	v_mul_f64 v[2:3], v[8:9], v[2:3]
	s_delay_alu instid0(VALU_DEP_2) | instskip(NEXT) | instid1(VALU_DEP_2)
	v_fma_f64 v[6:7], v[8:9], v[0:1], v[6:7]
	v_fma_f64 v[2:3], v[0:1], v[10:11], -v[2:3]
	s_delay_alu instid0(VALU_DEP_2) | instskip(NEXT) | instid1(VALU_DEP_2)
	v_mul_f64 v[0:1], v[6:7], s[0:1]
	v_mul_f64 v[2:3], v[2:3], s[0:1]
	global_store_b128 v[18:19], v[0:3], off
	global_load_b128 v[0:3], v4, s[12:13]
	ds_load_b128 v[4:7], v255 offset:9216
	ds_load_b128 v[8:11], v255 offset:9984
	s_waitcnt vmcnt(0) lgkmcnt(1)
	v_mul_f64 v[20:21], v[6:7], v[2:3]
	v_mul_f64 v[2:3], v[4:5], v[2:3]
	s_delay_alu instid0(VALU_DEP_2) | instskip(NEXT) | instid1(VALU_DEP_2)
	v_fma_f64 v[4:5], v[4:5], v[0:1], v[20:21]
	v_fma_f64 v[2:3], v[0:1], v[6:7], -v[2:3]
	v_mad_u64_u32 v[6:7], null, s4, v24, 0
	s_delay_alu instid0(VALU_DEP_3) | instskip(NEXT) | instid1(VALU_DEP_3)
	v_mul_f64 v[0:1], v[4:5], s[0:1]
	v_mul_f64 v[2:3], v[2:3], s[0:1]
	s_delay_alu instid0(VALU_DEP_3) | instskip(NEXT) | instid1(VALU_DEP_1)
	v_mov_b32_e32 v4, v7
	v_mad_u64_u32 v[20:21], null, s5, v24, v[4:5]
	s_delay_alu instid0(VALU_DEP_1) | instskip(NEXT) | instid1(VALU_DEP_1)
	v_mov_b32_e32 v7, v20
	v_lshlrev_b64 v[4:5], 4, v[6:7]
	s_delay_alu instid0(VALU_DEP_1) | instskip(NEXT) | instid1(VALU_DEP_2)
	v_add_co_u32 v4, vcc_lo, v22, v4
	v_add_co_ci_u32_e32 v5, vcc_lo, v23, v5, vcc_lo
	v_add_co_u32 v18, vcc_lo, v18, s8
	v_add_co_ci_u32_e32 v19, vcc_lo, s7, v19, vcc_lo
	global_store_b128 v[4:5], v[0:3], off
	global_load_b128 v[0:3], v[16:17], off offset:1792
	s_waitcnt vmcnt(0) lgkmcnt(0)
	v_mul_f64 v[4:5], v[10:11], v[2:3]
	v_mul_f64 v[2:3], v[8:9], v[2:3]
	s_delay_alu instid0(VALU_DEP_2) | instskip(NEXT) | instid1(VALU_DEP_2)
	v_fma_f64 v[4:5], v[8:9], v[0:1], v[4:5]
	v_fma_f64 v[2:3], v[0:1], v[10:11], -v[2:3]
	s_delay_alu instid0(VALU_DEP_2) | instskip(NEXT) | instid1(VALU_DEP_2)
	v_mul_f64 v[0:1], v[4:5], s[0:1]
	v_mul_f64 v[2:3], v[2:3], s[0:1]
	global_store_b128 v[18:19], v[0:3], off
	global_load_b128 v[0:3], v[16:17], off offset:2560
	ds_load_b128 v[4:7], v255 offset:10752
	ds_load_b128 v[8:11], v255 offset:11520
	s_waitcnt vmcnt(0) lgkmcnt(1)
	v_mul_f64 v[20:21], v[6:7], v[2:3]
	v_mul_f64 v[2:3], v[4:5], v[2:3]
	s_delay_alu instid0(VALU_DEP_2) | instskip(NEXT) | instid1(VALU_DEP_2)
	v_fma_f64 v[4:5], v[4:5], v[0:1], v[20:21]
	v_fma_f64 v[2:3], v[0:1], v[6:7], -v[2:3]
	s_delay_alu instid0(VALU_DEP_2) | instskip(NEXT) | instid1(VALU_DEP_2)
	v_mul_f64 v[0:1], v[4:5], s[0:1]
	v_mul_f64 v[2:3], v[2:3], s[0:1]
	v_add_co_u32 v4, vcc_lo, v18, s6
	v_add_co_ci_u32_e32 v5, vcc_lo, s3, v19, vcc_lo
	global_store_b128 v[4:5], v[0:3], off
	global_load_b128 v[0:3], v[16:17], off offset:3328
	v_add_co_u32 v4, vcc_lo, v4, s6
	v_add_co_ci_u32_e32 v5, vcc_lo, s3, v5, vcc_lo
	s_waitcnt vmcnt(0) lgkmcnt(0)
	v_mul_f64 v[6:7], v[10:11], v[2:3]
	v_mul_f64 v[2:3], v[8:9], v[2:3]
	s_delay_alu instid0(VALU_DEP_2) | instskip(SKIP_3) | instid1(VALU_DEP_2)
	v_fma_f64 v[6:7], v[8:9], v[0:1], v[6:7]
	scratch_load_b32 v9, off, off offset:504 ; 4-byte Folded Reload
	v_fma_f64 v[2:3], v[0:1], v[10:11], -v[2:3]
	v_mul_f64 v[0:1], v[6:7], s[0:1]
	v_mul_f64 v[2:3], v[2:3], s[0:1]
	global_store_b128 v[4:5], v[0:3], off
	s_waitcnt vmcnt(0)
	v_lshlrev_b32_e32 v6, 4, v9
	global_load_b128 v[0:3], v6, s[12:13]
	v_mad_u64_u32 v[6:7], null, s4, v9, 0
	s_waitcnt vmcnt(0)
	v_mul_f64 v[4:5], v[14:15], v[2:3]
	v_mul_f64 v[2:3], v[12:13], v[2:3]
	s_delay_alu instid0(VALU_DEP_2) | instskip(NEXT) | instid1(VALU_DEP_2)
	v_fma_f64 v[4:5], v[12:13], v[0:1], v[4:5]
	v_fma_f64 v[2:3], v[0:1], v[14:15], -v[2:3]
	s_delay_alu instid0(VALU_DEP_2) | instskip(NEXT) | instid1(VALU_DEP_2)
	v_mul_f64 v[0:1], v[4:5], s[0:1]
	v_mul_f64 v[2:3], v[2:3], s[0:1]
	v_mov_b32_e32 v4, v7
	s_delay_alu instid0(VALU_DEP_1) | instskip(NEXT) | instid1(VALU_DEP_1)
	v_mad_u64_u32 v[7:8], null, s5, v9, v[4:5]
	v_lshlrev_b64 v[4:5], 4, v[6:7]
	s_delay_alu instid0(VALU_DEP_1) | instskip(NEXT) | instid1(VALU_DEP_2)
	v_add_co_u32 v4, vcc_lo, v22, v4
	v_add_co_ci_u32_e32 v5, vcc_lo, v23, v5, vcc_lo
	global_store_b128 v[4:5], v[0:3], off
.LBB0_23:
	s_nop 0
	s_sendmsg sendmsg(MSG_DEALLOC_VGPRS)
	s_endpgm
	.section	.rodata,"a",@progbits
	.p2align	6, 0x0
	.amdhsa_kernel bluestein_single_fwd_len816_dim1_dp_op_CI_CI
		.amdhsa_group_segment_fixed_size 13056
		.amdhsa_private_segment_fixed_size 684
		.amdhsa_kernarg_size 104
		.amdhsa_user_sgpr_count 15
		.amdhsa_user_sgpr_dispatch_ptr 0
		.amdhsa_user_sgpr_queue_ptr 0
		.amdhsa_user_sgpr_kernarg_segment_ptr 1
		.amdhsa_user_sgpr_dispatch_id 0
		.amdhsa_user_sgpr_private_segment_size 0
		.amdhsa_wavefront_size32 1
		.amdhsa_uses_dynamic_stack 0
		.amdhsa_enable_private_segment 1
		.amdhsa_system_sgpr_workgroup_id_x 1
		.amdhsa_system_sgpr_workgroup_id_y 0
		.amdhsa_system_sgpr_workgroup_id_z 0
		.amdhsa_system_sgpr_workgroup_info 0
		.amdhsa_system_vgpr_workitem_id 0
		.amdhsa_next_free_vgpr 256
		.amdhsa_next_free_sgpr 58
		.amdhsa_reserve_vcc 1
		.amdhsa_float_round_mode_32 0
		.amdhsa_float_round_mode_16_64 0
		.amdhsa_float_denorm_mode_32 3
		.amdhsa_float_denorm_mode_16_64 3
		.amdhsa_dx10_clamp 1
		.amdhsa_ieee_mode 1
		.amdhsa_fp16_overflow 0
		.amdhsa_workgroup_processor_mode 1
		.amdhsa_memory_ordered 1
		.amdhsa_forward_progress 0
		.amdhsa_shared_vgpr_count 0
		.amdhsa_exception_fp_ieee_invalid_op 0
		.amdhsa_exception_fp_denorm_src 0
		.amdhsa_exception_fp_ieee_div_zero 0
		.amdhsa_exception_fp_ieee_overflow 0
		.amdhsa_exception_fp_ieee_underflow 0
		.amdhsa_exception_fp_ieee_inexact 0
		.amdhsa_exception_int_div_zero 0
	.end_amdhsa_kernel
	.text
.Lfunc_end0:
	.size	bluestein_single_fwd_len816_dim1_dp_op_CI_CI, .Lfunc_end0-bluestein_single_fwd_len816_dim1_dp_op_CI_CI
                                        ; -- End function
	.section	.AMDGPU.csdata,"",@progbits
; Kernel info:
; codeLenInByte = 31920
; NumSgprs: 60
; NumVgprs: 256
; ScratchSize: 684
; MemoryBound: 0
; FloatMode: 240
; IeeeMode: 1
; LDSByteSize: 13056 bytes/workgroup (compile time only)
; SGPRBlocks: 7
; VGPRBlocks: 31
; NumSGPRsForWavesPerEU: 60
; NumVGPRsForWavesPerEU: 256
; Occupancy: 5
; WaveLimiterHint : 1
; COMPUTE_PGM_RSRC2:SCRATCH_EN: 1
; COMPUTE_PGM_RSRC2:USER_SGPR: 15
; COMPUTE_PGM_RSRC2:TRAP_HANDLER: 0
; COMPUTE_PGM_RSRC2:TGID_X_EN: 1
; COMPUTE_PGM_RSRC2:TGID_Y_EN: 0
; COMPUTE_PGM_RSRC2:TGID_Z_EN: 0
; COMPUTE_PGM_RSRC2:TIDIG_COMP_CNT: 0
	.text
	.p2alignl 7, 3214868480
	.fill 96, 4, 3214868480
	.type	__hip_cuid_d663fed5a3157bb4,@object ; @__hip_cuid_d663fed5a3157bb4
	.section	.bss,"aw",@nobits
	.globl	__hip_cuid_d663fed5a3157bb4
__hip_cuid_d663fed5a3157bb4:
	.byte	0                               ; 0x0
	.size	__hip_cuid_d663fed5a3157bb4, 1

	.ident	"AMD clang version 19.0.0git (https://github.com/RadeonOpenCompute/llvm-project roc-6.4.0 25133 c7fe45cf4b819c5991fe208aaa96edf142730f1d)"
	.section	".note.GNU-stack","",@progbits
	.addrsig
	.addrsig_sym __hip_cuid_d663fed5a3157bb4
	.amdgpu_metadata
---
amdhsa.kernels:
  - .args:
      - .actual_access:  read_only
        .address_space:  global
        .offset:         0
        .size:           8
        .value_kind:     global_buffer
      - .actual_access:  read_only
        .address_space:  global
        .offset:         8
        .size:           8
        .value_kind:     global_buffer
      - .actual_access:  read_only
        .address_space:  global
        .offset:         16
        .size:           8
        .value_kind:     global_buffer
      - .actual_access:  read_only
        .address_space:  global
        .offset:         24
        .size:           8
        .value_kind:     global_buffer
      - .actual_access:  read_only
        .address_space:  global
        .offset:         32
        .size:           8
        .value_kind:     global_buffer
      - .offset:         40
        .size:           8
        .value_kind:     by_value
      - .address_space:  global
        .offset:         48
        .size:           8
        .value_kind:     global_buffer
      - .address_space:  global
        .offset:         56
        .size:           8
        .value_kind:     global_buffer
      - .address_space:  global
        .offset:         64
        .size:           8
        .value_kind:     global_buffer
      - .address_space:  global
        .offset:         72
        .size:           8
        .value_kind:     global_buffer
      - .offset:         80
        .size:           4
        .value_kind:     by_value
      - .address_space:  global
        .offset:         88
        .size:           8
        .value_kind:     global_buffer
      - .address_space:  global
        .offset:         96
        .size:           8
        .value_kind:     global_buffer
    .group_segment_fixed_size: 13056
    .kernarg_segment_align: 8
    .kernarg_segment_size: 104
    .language:       OpenCL C
    .language_version:
      - 2
      - 0
    .max_flat_workgroup_size: 51
    .name:           bluestein_single_fwd_len816_dim1_dp_op_CI_CI
    .private_segment_fixed_size: 684
    .sgpr_count:     60
    .sgpr_spill_count: 0
    .symbol:         bluestein_single_fwd_len816_dim1_dp_op_CI_CI.kd
    .uniform_work_group_size: 1
    .uses_dynamic_stack: false
    .vgpr_count:     256
    .vgpr_spill_count: 174
    .wavefront_size: 32
    .workgroup_processor_mode: 1
amdhsa.target:   amdgcn-amd-amdhsa--gfx1100
amdhsa.version:
  - 1
  - 2
...

	.end_amdgpu_metadata
